;; amdgpu-corpus repo=ROCm/rocSPARSE kind=compiled arch=gfx1100 opt=O3
	.text
	.amdgcn_target "amdgcn-amd-amdhsa--gfx1100"
	.amdhsa_code_object_version 6
	.section	.text._ZN9rocsparseL27csrsv_analysis_upper_kernelILj1024ELj64ELb1EiiEEvT3_PKT2_PKS1_PS2_PiS7_PS1_21rocsparse_index_base_20rocsparse_diag_type_,"axG",@progbits,_ZN9rocsparseL27csrsv_analysis_upper_kernelILj1024ELj64ELb1EiiEEvT3_PKT2_PKS1_PS2_PiS7_PS1_21rocsparse_index_base_20rocsparse_diag_type_,comdat
	.globl	_ZN9rocsparseL27csrsv_analysis_upper_kernelILj1024ELj64ELb1EiiEEvT3_PKT2_PKS1_PS2_PiS7_PS1_21rocsparse_index_base_20rocsparse_diag_type_ ; -- Begin function _ZN9rocsparseL27csrsv_analysis_upper_kernelILj1024ELj64ELb1EiiEEvT3_PKT2_PKS1_PS2_PiS7_PS1_21rocsparse_index_base_20rocsparse_diag_type_
	.p2align	8
	.type	_ZN9rocsparseL27csrsv_analysis_upper_kernelILj1024ELj64ELb1EiiEEvT3_PKT2_PKS1_PS2_PiS7_PS1_21rocsparse_index_base_20rocsparse_diag_type_,@function
_ZN9rocsparseL27csrsv_analysis_upper_kernelILj1024ELj64ELb1EiiEEvT3_PKT2_PKS1_PS2_PiS7_PS1_21rocsparse_index_base_20rocsparse_diag_type_: ; @_ZN9rocsparseL27csrsv_analysis_upper_kernelILj1024ELj64ELb1EiiEEvT3_PKT2_PKS1_PS2_PiS7_PS1_21rocsparse_index_base_20rocsparse_diag_type_
; %bb.0:
	s_load_b32 s2, s[0:1], 0x0
	s_lshl_b32 s3, s15, 4
	v_lshrrev_b32_e32 v2, 6, v0
	s_not_b32 s12, s3
	s_delay_alu instid0(VALU_DEP_1)
	v_lshlrev_b32_e32 v8, 2, v2
	s_waitcnt lgkmcnt(0)
	s_add_i32 s12, s12, s2
	s_mov_b32 s2, exec_lo
	v_sub_nc_u32_e32 v1, s12, v2
	v_mov_b32_e32 v2, 0
	ds_store_b32 v8, v2
	s_waitcnt lgkmcnt(0)
	s_barrier
	buffer_gl0_inv
	v_cmpx_lt_i32_e32 -1, v1
	s_cbranch_execz .LBB0_37
; %bb.1:
	s_clause 0x1
	s_load_b64 s[2:3], s[0:1], 0x8
	s_load_b128 s[8:11], s[0:1], 0x18
	v_lshlrev_b64 v[2:3], 2, v[1:2]
	v_and_b32_e32 v0, 63, v0
	s_mov_b32 s4, exec_lo
	s_delay_alu instid0(VALU_DEP_1)
	v_cmpx_eq_u32_e32 0, v0
	s_cbranch_execz .LBB0_3
; %bb.2:
	s_waitcnt lgkmcnt(0)
	v_add_co_u32 v4, vcc_lo, s8, v2
	v_add_co_ci_u32_e32 v5, vcc_lo, s9, v3, vcc_lo
	v_mov_b32_e32 v6, -1
	global_store_b32 v[4:5], v6, off
.LBB0_3:
	s_or_b32 exec_lo, exec_lo, s4
	s_waitcnt lgkmcnt(0)
	v_add_co_u32 v4, vcc_lo, s2, v2
	v_add_co_ci_u32_e32 v5, vcc_lo, s3, v3, vcc_lo
	v_mov_b32_e32 v11, 0
	s_mov_b32 s14, -1
	s_mov_b32 s13, exec_lo
	global_load_b64 v[4:5], v[4:5], off
	s_clause 0x1
	s_load_b64 s[2:3], s[0:1], 0x38
	s_load_b128 s[4:7], s[0:1], 0x28
	s_waitcnt vmcnt(0) lgkmcnt(0)
	v_subrev_nc_u32_e32 v9, s2, v5
	v_subrev_nc_u32_e32 v10, s2, v4
	v_mov_b32_e32 v5, -1
	s_delay_alu instid0(VALU_DEP_3) | instskip(NEXT) | instid1(VALU_DEP_1)
	v_xad_u32 v4, v0, -1, v9
	v_cmpx_ge_i32_e64 v4, v10
	s_cbranch_execz .LBB0_15
; %bb.4:
	s_load_b64 s[0:1], s[0:1], 0x10
	v_mov_b32_e32 v11, 0
	s_mov_b32 s14, 0
                                        ; implicit-def: $sgpr15
                                        ; implicit-def: $sgpr17
                                        ; implicit-def: $sgpr16
	s_branch .LBB0_8
.LBB0_5:                                ;   in Loop: Header=BB0_8 Depth=1
	s_or_b32 exec_lo, exec_lo, s20
.LBB0_6:                                ;   in Loop: Header=BB0_8 Depth=1
	s_delay_alu instid0(SALU_CYCLE_1) | instskip(SKIP_4) | instid1(VALU_DEP_2)
	s_or_b32 exec_lo, exec_lo, s19
	v_subrev_nc_u32_e32 v4, 64, v4
	v_max_i32_e32 v11, v12, v11
	s_and_not1_b32 s17, s17, exec_lo
	s_or_b32 s16, s16, exec_lo
	v_cmp_lt_i32_e32 vcc_lo, v4, v10
	s_and_b32 s19, vcc_lo, exec_lo
	s_delay_alu instid0(SALU_CYCLE_1)
	s_or_b32 s17, s17, s19
.LBB0_7:                                ;   in Loop: Header=BB0_8 Depth=1
	s_or_b32 exec_lo, exec_lo, s18
	s_delay_alu instid0(SALU_CYCLE_1) | instskip(NEXT) | instid1(SALU_CYCLE_1)
	s_and_b32 s18, exec_lo, s17
	s_or_b32 s14, s18, s14
	s_and_not1_b32 s15, s15, exec_lo
	s_and_b32 s18, s16, exec_lo
	s_delay_alu instid0(SALU_CYCLE_1)
	s_or_b32 s15, s15, s18
	s_and_not1_b32 exec_lo, exec_lo, s14
	s_cbranch_execz .LBB0_14
.LBB0_8:                                ; =>This Loop Header: Depth=1
                                        ;     Child Loop BB0_12 Depth 2
                                        ;       Child Loop BB0_13 Depth 3
	v_ashrrev_i32_e32 v5, 31, v4
	s_and_not1_b32 s16, s16, exec_lo
	s_or_b32 s17, s17, exec_lo
	s_mov_b32 s18, exec_lo
	s_delay_alu instid0(VALU_DEP_1) | instskip(SKIP_1) | instid1(VALU_DEP_1)
	v_lshlrev_b64 v[5:6], 2, v[4:5]
	s_waitcnt lgkmcnt(0)
	v_add_co_u32 v5, vcc_lo, s0, v5
	s_delay_alu instid0(VALU_DEP_2) | instskip(SKIP_3) | instid1(VALU_DEP_1)
	v_add_co_ci_u32_e32 v6, vcc_lo, s1, v6, vcc_lo
	global_load_b32 v5, v[5:6], off slc dlc
	s_waitcnt vmcnt(0)
	v_subrev_nc_u32_e32 v5, s2, v5
	v_cmpx_lt_i32_e64 s12, v5
	s_cbranch_execz .LBB0_7
; %bb.9:                                ;   in Loop: Header=BB0_8 Depth=1
	v_ashrrev_i32_e32 v6, 31, v5
	s_mov_b32 s19, exec_lo
	s_delay_alu instid0(VALU_DEP_1) | instskip(NEXT) | instid1(VALU_DEP_1)
	v_lshlrev_b64 v[6:7], 2, v[5:6]
	v_add_co_u32 v6, vcc_lo, s10, v6
	s_delay_alu instid0(VALU_DEP_2)
	v_add_co_ci_u32_e32 v7, vcc_lo, s11, v7, vcc_lo
	global_load_b32 v12, v[6:7], off glc
	s_waitcnt vmcnt(0)
	v_cmpx_eq_u32_e32 0, v12
	s_cbranch_execz .LBB0_6
; %bb.10:                               ;   in Loop: Header=BB0_8 Depth=1
	s_mov_b32 s20, 0
	s_mov_b32 s21, 0
	s_branch .LBB0_12
	.p2align	6
.LBB0_11:                               ;   in Loop: Header=BB0_12 Depth=2
	global_load_b32 v12, v[6:7], off glc
	s_cmpk_lt_u32 s21, 0xf43
	s_cselect_b32 s22, -1, 0
	s_delay_alu instid0(SALU_CYCLE_1) | instskip(SKIP_4) | instid1(SALU_CYCLE_1)
	s_cmp_lg_u32 s22, 0
	s_addc_u32 s21, s21, 0
	s_waitcnt vmcnt(0)
	v_cmp_ne_u32_e32 vcc_lo, 0, v12
	s_or_b32 s20, vcc_lo, s20
	s_and_not1_b32 exec_lo, exec_lo, s20
	s_cbranch_execz .LBB0_5
.LBB0_12:                               ;   Parent Loop BB0_8 Depth=1
                                        ; =>  This Loop Header: Depth=2
                                        ;       Child Loop BB0_13 Depth 3
	s_cmp_eq_u32 s21, 0
	s_mov_b32 s22, s21
	s_cbranch_scc1 .LBB0_11
.LBB0_13:                               ;   Parent Loop BB0_8 Depth=1
                                        ;     Parent Loop BB0_12 Depth=2
                                        ; =>    This Inner Loop Header: Depth=3
	s_add_i32 s22, s22, -1
	s_sleep 1
	s_cmp_eq_u32 s22, 0
	s_cbranch_scc0 .LBB0_13
	s_branch .LBB0_11
.LBB0_14:
	s_or_b32 exec_lo, exec_lo, s14
	s_delay_alu instid0(SALU_CYCLE_1)
	s_or_not1_b32 s14, s15, exec_lo
.LBB0_15:
	s_or_b32 exec_lo, exec_lo, s13
	s_xor_b32 s1, s14, -1
	s_delay_alu instid0(SALU_CYCLE_1)
	s_and_saveexec_b32 s0, s1
	s_cbranch_execz .LBB0_27
; %bb.16:
	s_mov_b32 s1, exec_lo
	v_cmpx_eq_u32_e64 v5, v1
	s_cbranch_execz .LBB0_18
; %bb.17:
	v_add_co_u32 v6, vcc_lo, s8, v2
	v_add_co_ci_u32_e32 v7, vcc_lo, s9, v3, vcc_lo
	global_store_b32 v[6:7], v4, off
.LBB0_18:
	s_or_b32 exec_lo, exec_lo, s1
	s_delay_alu instid0(SALU_CYCLE_1)
	s_mov_b32 s1, exec_lo
	v_cmpx_gt_i32_e64 v5, v1
	s_cbranch_execz .LBB0_26
; %bb.19:
	v_sub_nc_u32_e32 v4, s12, v5
	s_mov_b32 s13, 0
	s_mov_b32 s12, exec_lo
	s_delay_alu instid0(VALU_DEP_1)
	v_lshlrev_b32_e32 v4, 2, v4
	ds_load_b32 v5, v4
	s_waitcnt lgkmcnt(0)
	v_cmpx_eq_u32_e32 0, v5
	s_cbranch_execz .LBB0_25
; %bb.20:
	s_mov_b32 s14, 0
	s_branch .LBB0_22
	.p2align	6
.LBB0_21:                               ;   in Loop: Header=BB0_22 Depth=1
	ds_load_b32 v5, v4
	s_cmpk_lt_u32 s14, 0xf43
	s_cselect_b32 s15, -1, 0
	s_delay_alu instid0(SALU_CYCLE_1) | instskip(SKIP_4) | instid1(SALU_CYCLE_1)
	s_cmp_lg_u32 s15, 0
	s_addc_u32 s14, s14, 0
	s_waitcnt lgkmcnt(0)
	v_cmp_ne_u32_e32 vcc_lo, 0, v5
	s_or_b32 s13, vcc_lo, s13
	s_and_not1_b32 exec_lo, exec_lo, s13
	s_cbranch_execz .LBB0_24
.LBB0_22:                               ; =>This Loop Header: Depth=1
                                        ;     Child Loop BB0_23 Depth 2
	s_cmp_eq_u32 s14, 0
	s_mov_b32 s15, s14
	s_cbranch_scc1 .LBB0_21
.LBB0_23:                               ;   Parent Loop BB0_22 Depth=1
                                        ; =>  This Inner Loop Header: Depth=2
	s_add_i32 s15, s15, -1
	s_sleep 1
	s_cmp_eq_u32 s15, 0
	s_cbranch_scc0 .LBB0_23
	s_branch .LBB0_21
.LBB0_24:
	s_or_b32 exec_lo, exec_lo, s13
.LBB0_25:
	s_delay_alu instid0(SALU_CYCLE_1)
	s_or_b32 exec_lo, exec_lo, s12
	v_max_i32_e32 v11, v5, v11
.LBB0_26:
	s_or_b32 exec_lo, exec_lo, s1
.LBB0_27:
	s_delay_alu instid0(SALU_CYCLE_1)
	s_or_b32 exec_lo, exec_lo, s0
	v_mbcnt_lo_u32_b32 v4, -1, 0
	s_waitcnt_vscnt null, 0x0
	buffer_gl0_inv
	v_or_b32_e32 v5, 32, v4
	v_xor_b32_e32 v6, 16, v4
	v_xor_b32_e32 v7, 8, v4
	s_delay_alu instid0(VALU_DEP_3) | instskip(SKIP_1) | instid1(VALU_DEP_4)
	v_cmp_gt_i32_e32 vcc_lo, 32, v5
	v_cndmask_b32_e32 v5, v4, v5, vcc_lo
	v_cmp_gt_i32_e32 vcc_lo, 32, v6
	v_cndmask_b32_e32 v6, v4, v6, vcc_lo
	;; [unrolled: 2-line block ×3, first 2 shown]
	s_delay_alu instid0(VALU_DEP_1) | instskip(NEXT) | instid1(VALU_DEP_4)
	v_lshlrev_b32_e32 v7, 2, v7
	v_lshlrev_b32_e32 v6, 2, v6
	;; [unrolled: 1-line block ×3, first 2 shown]
	ds_bpermute_b32 v5, v5, v11
	s_waitcnt lgkmcnt(0)
	v_max_i32_e32 v5, v11, v5
	ds_bpermute_b32 v6, v6, v5
	s_waitcnt lgkmcnt(0)
	v_max_i32_e32 v5, v5, v6
	ds_bpermute_b32 v6, v7, v5
	v_xor_b32_e32 v7, 4, v4
	s_delay_alu instid0(VALU_DEP_1) | instskip(SKIP_1) | instid1(VALU_DEP_1)
	v_cmp_gt_i32_e32 vcc_lo, 32, v7
	v_cndmask_b32_e32 v7, v4, v7, vcc_lo
	v_lshlrev_b32_e32 v7, 2, v7
	s_waitcnt lgkmcnt(0)
	v_max_i32_e32 v5, v5, v6
	ds_bpermute_b32 v6, v7, v5
	v_xor_b32_e32 v7, 2, v4
	s_delay_alu instid0(VALU_DEP_1) | instskip(SKIP_1) | instid1(VALU_DEP_1)
	v_cmp_gt_i32_e32 vcc_lo, 32, v7
	v_cndmask_b32_e32 v7, v4, v7, vcc_lo
	v_lshlrev_b32_e32 v7, 2, v7
	s_waitcnt lgkmcnt(0)
	v_max_i32_e32 v5, v5, v6
	ds_bpermute_b32 v6, v7, v5
	v_xor_b32_e32 v7, 1, v4
	s_delay_alu instid0(VALU_DEP_1) | instskip(SKIP_4) | instid1(VALU_DEP_3)
	v_cmp_gt_i32_e32 vcc_lo, 32, v7
	v_cndmask_b32_e32 v7, v4, v7, vcc_lo
	v_cmp_eq_u32_e32 vcc_lo, 63, v0
	s_waitcnt lgkmcnt(0)
	v_max_i32_e32 v4, v5, v6
	v_lshlrev_b32_e32 v5, 2, v7
	ds_bpermute_b32 v5, v5, v4
	s_and_b32 exec_lo, exec_lo, vcc_lo
	s_cbranch_execz .LBB0_37
; %bb.28:
	s_waitcnt lgkmcnt(0)
	v_max_i32_e32 v0, v4, v5
	v_add_co_u32 v4, vcc_lo, s10, v2
	v_add_co_ci_u32_e32 v5, vcc_lo, s11, v3, vcc_lo
	s_delay_alu instid0(VALU_DEP_3)
	v_add_nc_u32_e32 v6, 1, v0
	v_sub_nc_u32_e32 v0, v9, v10
	s_mov_b32 s1, exec_lo
	s_brev_b32 s0, 1
	ds_store_b32 v8, v6
	global_store_b32 v[4:5], v6, off
.LBB0_29:                               ; =>This Inner Loop Header: Depth=1
	s_ctz_i32_b32 s10, s1
	s_delay_alu instid0(SALU_CYCLE_1) | instskip(SKIP_1) | instid1(SALU_CYCLE_1)
	v_readlane_b32 s11, v0, s10
	s_lshl_b32 s10, 1, s10
	s_and_not1_b32 s1, s1, s10
	s_delay_alu instid0(VALU_DEP_1)
	s_max_i32 s0, s0, s11
	s_cmp_lg_u32 s1, 0
	s_cbranch_scc1 .LBB0_29
; %bb.30:
	v_mbcnt_lo_u32_b32 v0, exec_lo, 0
	s_mov_b32 s1, exec_lo
	s_delay_alu instid0(VALU_DEP_1)
	v_cmpx_eq_u32_e32 0, v0
	s_xor_b32 s1, exec_lo, s1
	s_cbranch_execz .LBB0_32
; %bb.31:
	v_mov_b32_e32 v0, 0
	v_mov_b32_e32 v4, s0
	global_atomic_max_i32 v0, v4, s[4:5]
.LBB0_32:
	s_or_b32 exec_lo, exec_lo, s1
	v_add_co_u32 v2, vcc_lo, s8, v2
	v_add_co_ci_u32_e32 v3, vcc_lo, s9, v3, vcc_lo
	s_cmp_eq_u32 s3, 0
	s_cselect_b32 s0, -1, 0
	global_load_b32 v0, v[2:3], off
	s_waitcnt vmcnt(0)
	v_cmp_eq_u32_e32 vcc_lo, -1, v0
	s_and_b32 s0, s0, vcc_lo
	s_delay_alu instid0(SALU_CYCLE_1)
	s_and_b32 exec_lo, exec_lo, s0
	s_cbranch_execz .LBB0_37
; %bb.33:
	v_add_nc_u32_e32 v0, s2, v1
	s_mov_b32 s1, exec_lo
	s_brev_b32 s0, -2
.LBB0_34:                               ; =>This Inner Loop Header: Depth=1
	s_ctz_i32_b32 s2, s1
	s_delay_alu instid0(VALU_DEP_1) | instid1(SALU_CYCLE_1)
	v_readlane_b32 s3, v0, s2
	s_lshl_b32 s2, 1, s2
	s_delay_alu instid0(SALU_CYCLE_1) | instskip(NEXT) | instid1(VALU_DEP_1)
	s_and_not1_b32 s1, s1, s2
	s_min_i32 s0, s0, s3
	s_cmp_lg_u32 s1, 0
	s_cbranch_scc1 .LBB0_34
; %bb.35:
	v_mbcnt_lo_u32_b32 v0, exec_lo, 0
	s_mov_b32 s1, exec_lo
	s_delay_alu instid0(VALU_DEP_1)
	v_cmpx_eq_u32_e32 0, v0
	s_xor_b32 s1, exec_lo, s1
	s_cbranch_execz .LBB0_37
; %bb.36:
	v_dual_mov_b32 v0, 0 :: v_dual_mov_b32 v1, s0
	global_atomic_min_i32 v0, v1, s[6:7]
.LBB0_37:
	s_nop 0
	s_sendmsg sendmsg(MSG_DEALLOC_VGPRS)
	s_endpgm
	.section	.rodata,"a",@progbits
	.p2align	6, 0x0
	.amdhsa_kernel _ZN9rocsparseL27csrsv_analysis_upper_kernelILj1024ELj64ELb1EiiEEvT3_PKT2_PKS1_PS2_PiS7_PS1_21rocsparse_index_base_20rocsparse_diag_type_
		.amdhsa_group_segment_fixed_size 64
		.amdhsa_private_segment_fixed_size 0
		.amdhsa_kernarg_size 64
		.amdhsa_user_sgpr_count 15
		.amdhsa_user_sgpr_dispatch_ptr 0
		.amdhsa_user_sgpr_queue_ptr 0
		.amdhsa_user_sgpr_kernarg_segment_ptr 1
		.amdhsa_user_sgpr_dispatch_id 0
		.amdhsa_user_sgpr_private_segment_size 0
		.amdhsa_wavefront_size32 1
		.amdhsa_uses_dynamic_stack 0
		.amdhsa_enable_private_segment 0
		.amdhsa_system_sgpr_workgroup_id_x 1
		.amdhsa_system_sgpr_workgroup_id_y 0
		.amdhsa_system_sgpr_workgroup_id_z 0
		.amdhsa_system_sgpr_workgroup_info 0
		.amdhsa_system_vgpr_workitem_id 0
		.amdhsa_next_free_vgpr 13
		.amdhsa_next_free_sgpr 23
		.amdhsa_reserve_vcc 1
		.amdhsa_float_round_mode_32 0
		.amdhsa_float_round_mode_16_64 0
		.amdhsa_float_denorm_mode_32 3
		.amdhsa_float_denorm_mode_16_64 3
		.amdhsa_dx10_clamp 1
		.amdhsa_ieee_mode 1
		.amdhsa_fp16_overflow 0
		.amdhsa_workgroup_processor_mode 1
		.amdhsa_memory_ordered 1
		.amdhsa_forward_progress 0
		.amdhsa_shared_vgpr_count 0
		.amdhsa_exception_fp_ieee_invalid_op 0
		.amdhsa_exception_fp_denorm_src 0
		.amdhsa_exception_fp_ieee_div_zero 0
		.amdhsa_exception_fp_ieee_overflow 0
		.amdhsa_exception_fp_ieee_underflow 0
		.amdhsa_exception_fp_ieee_inexact 0
		.amdhsa_exception_int_div_zero 0
	.end_amdhsa_kernel
	.section	.text._ZN9rocsparseL27csrsv_analysis_upper_kernelILj1024ELj64ELb1EiiEEvT3_PKT2_PKS1_PS2_PiS7_PS1_21rocsparse_index_base_20rocsparse_diag_type_,"axG",@progbits,_ZN9rocsparseL27csrsv_analysis_upper_kernelILj1024ELj64ELb1EiiEEvT3_PKT2_PKS1_PS2_PiS7_PS1_21rocsparse_index_base_20rocsparse_diag_type_,comdat
.Lfunc_end0:
	.size	_ZN9rocsparseL27csrsv_analysis_upper_kernelILj1024ELj64ELb1EiiEEvT3_PKT2_PKS1_PS2_PiS7_PS1_21rocsparse_index_base_20rocsparse_diag_type_, .Lfunc_end0-_ZN9rocsparseL27csrsv_analysis_upper_kernelILj1024ELj64ELb1EiiEEvT3_PKT2_PKS1_PS2_PiS7_PS1_21rocsparse_index_base_20rocsparse_diag_type_
                                        ; -- End function
	.section	.AMDGPU.csdata,"",@progbits
; Kernel info:
; codeLenInByte = 1372
; NumSgprs: 25
; NumVgprs: 13
; ScratchSize: 0
; MemoryBound: 0
; FloatMode: 240
; IeeeMode: 1
; LDSByteSize: 64 bytes/workgroup (compile time only)
; SGPRBlocks: 3
; VGPRBlocks: 1
; NumSGPRsForWavesPerEU: 25
; NumVGPRsForWavesPerEU: 13
; Occupancy: 16
; WaveLimiterHint : 1
; COMPUTE_PGM_RSRC2:SCRATCH_EN: 0
; COMPUTE_PGM_RSRC2:USER_SGPR: 15
; COMPUTE_PGM_RSRC2:TRAP_HANDLER: 0
; COMPUTE_PGM_RSRC2:TGID_X_EN: 1
; COMPUTE_PGM_RSRC2:TGID_Y_EN: 0
; COMPUTE_PGM_RSRC2:TGID_Z_EN: 0
; COMPUTE_PGM_RSRC2:TIDIG_COMP_CNT: 0
	.section	.text._ZN9rocsparseL27csrsv_analysis_lower_kernelILj1024ELj64ELb1EiiEEvT3_PKT2_PKS1_PS2_PiS7_PS1_21rocsparse_index_base_20rocsparse_diag_type_,"axG",@progbits,_ZN9rocsparseL27csrsv_analysis_lower_kernelILj1024ELj64ELb1EiiEEvT3_PKT2_PKS1_PS2_PiS7_PS1_21rocsparse_index_base_20rocsparse_diag_type_,comdat
	.globl	_ZN9rocsparseL27csrsv_analysis_lower_kernelILj1024ELj64ELb1EiiEEvT3_PKT2_PKS1_PS2_PiS7_PS1_21rocsparse_index_base_20rocsparse_diag_type_ ; -- Begin function _ZN9rocsparseL27csrsv_analysis_lower_kernelILj1024ELj64ELb1EiiEEvT3_PKT2_PKS1_PS2_PiS7_PS1_21rocsparse_index_base_20rocsparse_diag_type_
	.p2align	8
	.type	_ZN9rocsparseL27csrsv_analysis_lower_kernelILj1024ELj64ELb1EiiEEvT3_PKT2_PKS1_PS2_PiS7_PS1_21rocsparse_index_base_20rocsparse_diag_type_,@function
_ZN9rocsparseL27csrsv_analysis_lower_kernelILj1024ELj64ELb1EiiEEvT3_PKT2_PKS1_PS2_PiS7_PS1_21rocsparse_index_base_20rocsparse_diag_type_: ; @_ZN9rocsparseL27csrsv_analysis_lower_kernelILj1024ELj64ELb1EiiEEvT3_PKT2_PKS1_PS2_PiS7_PS1_21rocsparse_index_base_20rocsparse_diag_type_
; %bb.0:
	s_load_b32 s2, s[0:1], 0x0
	v_lshrrev_b32_e32 v2, 6, v0
	s_lshl_b32 s12, s15, 4
	s_delay_alu instid0(VALU_DEP_1) | instid1(SALU_CYCLE_1)
	v_or_b32_e32 v1, s12, v2
	v_lshlrev_b32_e32 v8, 2, v2
	v_mov_b32_e32 v2, 0
	ds_store_b32 v8, v2
	s_waitcnt lgkmcnt(0)
	s_barrier
	buffer_gl0_inv
	v_cmp_gt_i32_e32 vcc_lo, s2, v1
	s_and_saveexec_b32 s2, vcc_lo
	s_cbranch_execz .LBB1_37
; %bb.1:
	s_clause 0x1
	s_load_b64 s[2:3], s[0:1], 0x8
	s_load_b128 s[8:11], s[0:1], 0x18
	v_ashrrev_i32_e32 v2, 31, v1
	v_and_b32_e32 v0, 63, v0
	s_mov_b32 s14, 0
	s_mov_b32 s4, exec_lo
	s_delay_alu instid0(VALU_DEP_2) | instskip(NEXT) | instid1(VALU_DEP_2)
	v_lshlrev_b64 v[2:3], 2, v[1:2]
	v_cmpx_eq_u32_e32 0, v0
	s_cbranch_execz .LBB1_3
; %bb.2:
	s_waitcnt lgkmcnt(0)
	s_delay_alu instid0(VALU_DEP_2) | instskip(NEXT) | instid1(VALU_DEP_3)
	v_add_co_u32 v4, vcc_lo, s8, v2
	v_add_co_ci_u32_e32 v5, vcc_lo, s9, v3, vcc_lo
	v_mov_b32_e32 v6, -1
	global_store_b32 v[4:5], v6, off
.LBB1_3:
	s_or_b32 exec_lo, exec_lo, s4
	s_waitcnt lgkmcnt(0)
	s_delay_alu instid0(VALU_DEP_2)
	v_add_co_u32 v4, vcc_lo, s2, v2
	v_add_co_ci_u32_e32 v5, vcc_lo, s3, v3, vcc_lo
	v_mov_b32_e32 v11, 0
	s_mov_b32 s13, exec_lo
	global_load_b64 v[4:5], v[4:5], off
	s_clause 0x1
	s_load_b64 s[2:3], s[0:1], 0x38
	s_load_b128 s[4:7], s[0:1], 0x28
	s_waitcnt vmcnt(0) lgkmcnt(0)
	v_subrev_nc_u32_e32 v9, s2, v4
	v_subrev_nc_u32_e32 v10, s2, v5
	s_delay_alu instid0(VALU_DEP_2) | instskip(NEXT) | instid1(VALU_DEP_1)
	v_dual_mov_b32 v5, -1 :: v_dual_add_nc_u32 v4, v9, v0
	v_cmpx_lt_i32_e64 v4, v10
	s_cbranch_execz .LBB1_15
; %bb.4:
	s_load_b64 s[0:1], s[0:1], 0x10
	v_mov_b32_e32 v11, 0
                                        ; implicit-def: $sgpr15
                                        ; implicit-def: $sgpr17
                                        ; implicit-def: $sgpr16
	s_branch .LBB1_8
.LBB1_5:                                ;   in Loop: Header=BB1_8 Depth=1
	s_or_b32 exec_lo, exec_lo, s20
.LBB1_6:                                ;   in Loop: Header=BB1_8 Depth=1
	s_delay_alu instid0(SALU_CYCLE_1) | instskip(SKIP_4) | instid1(VALU_DEP_2)
	s_or_b32 exec_lo, exec_lo, s19
	v_add_nc_u32_e32 v4, 64, v4
	v_max_i32_e32 v11, v12, v11
	s_and_not1_b32 s17, s17, exec_lo
	s_and_not1_b32 s16, s16, exec_lo
	v_cmp_ge_i32_e32 vcc_lo, v4, v10
	s_and_b32 s19, vcc_lo, exec_lo
	s_delay_alu instid0(SALU_CYCLE_1)
	s_or_b32 s17, s17, s19
.LBB1_7:                                ;   in Loop: Header=BB1_8 Depth=1
	s_or_b32 exec_lo, exec_lo, s18
	s_delay_alu instid0(SALU_CYCLE_1) | instskip(NEXT) | instid1(SALU_CYCLE_1)
	s_and_b32 s18, exec_lo, s17
	s_or_b32 s14, s18, s14
	s_and_not1_b32 s15, s15, exec_lo
	s_and_b32 s18, s16, exec_lo
	s_delay_alu instid0(SALU_CYCLE_1)
	s_or_b32 s15, s15, s18
	s_and_not1_b32 exec_lo, exec_lo, s14
	s_cbranch_execz .LBB1_14
.LBB1_8:                                ; =>This Loop Header: Depth=1
                                        ;     Child Loop BB1_12 Depth 2
                                        ;       Child Loop BB1_13 Depth 3
	v_ashrrev_i32_e32 v5, 31, v4
	s_or_b32 s16, s16, exec_lo
	s_or_b32 s17, s17, exec_lo
	s_mov_b32 s18, exec_lo
	s_delay_alu instid0(VALU_DEP_1) | instskip(SKIP_1) | instid1(VALU_DEP_1)
	v_lshlrev_b64 v[5:6], 2, v[4:5]
	s_waitcnt lgkmcnt(0)
	v_add_co_u32 v5, vcc_lo, s0, v5
	s_delay_alu instid0(VALU_DEP_2) | instskip(SKIP_3) | instid1(VALU_DEP_1)
	v_add_co_ci_u32_e32 v6, vcc_lo, s1, v6, vcc_lo
	global_load_b32 v5, v[5:6], off slc dlc
	s_waitcnt vmcnt(0)
	v_subrev_nc_u32_e32 v5, s2, v5
	v_cmpx_gt_i32_e64 s12, v5
	s_cbranch_execz .LBB1_7
; %bb.9:                                ;   in Loop: Header=BB1_8 Depth=1
	v_ashrrev_i32_e32 v6, 31, v5
	s_mov_b32 s19, exec_lo
	s_delay_alu instid0(VALU_DEP_1) | instskip(NEXT) | instid1(VALU_DEP_1)
	v_lshlrev_b64 v[6:7], 2, v[5:6]
	v_add_co_u32 v6, vcc_lo, s10, v6
	s_delay_alu instid0(VALU_DEP_2)
	v_add_co_ci_u32_e32 v7, vcc_lo, s11, v7, vcc_lo
	global_load_b32 v12, v[6:7], off glc
	s_waitcnt vmcnt(0)
	v_cmpx_eq_u32_e32 0, v12
	s_cbranch_execz .LBB1_6
; %bb.10:                               ;   in Loop: Header=BB1_8 Depth=1
	s_mov_b32 s20, 0
	s_mov_b32 s21, 0
	s_branch .LBB1_12
	.p2align	6
.LBB1_11:                               ;   in Loop: Header=BB1_12 Depth=2
	global_load_b32 v12, v[6:7], off glc
	s_cmpk_lt_u32 s21, 0xf43
	s_cselect_b32 s22, -1, 0
	s_delay_alu instid0(SALU_CYCLE_1) | instskip(SKIP_4) | instid1(SALU_CYCLE_1)
	s_cmp_lg_u32 s22, 0
	s_addc_u32 s21, s21, 0
	s_waitcnt vmcnt(0)
	v_cmp_ne_u32_e32 vcc_lo, 0, v12
	s_or_b32 s20, vcc_lo, s20
	s_and_not1_b32 exec_lo, exec_lo, s20
	s_cbranch_execz .LBB1_5
.LBB1_12:                               ;   Parent Loop BB1_8 Depth=1
                                        ; =>  This Loop Header: Depth=2
                                        ;       Child Loop BB1_13 Depth 3
	s_cmp_eq_u32 s21, 0
	s_mov_b32 s22, s21
	s_cbranch_scc1 .LBB1_11
.LBB1_13:                               ;   Parent Loop BB1_8 Depth=1
                                        ;     Parent Loop BB1_12 Depth=2
                                        ; =>    This Inner Loop Header: Depth=3
	s_add_i32 s22, s22, -1
	s_sleep 1
	s_cmp_eq_u32 s22, 0
	s_cbranch_scc0 .LBB1_13
	s_branch .LBB1_11
.LBB1_14:
	s_or_b32 exec_lo, exec_lo, s14
	s_delay_alu instid0(SALU_CYCLE_1)
	s_and_b32 s14, s15, exec_lo
.LBB1_15:
	s_or_b32 exec_lo, exec_lo, s13
	s_and_saveexec_b32 s0, s14
	s_cbranch_execz .LBB1_27
; %bb.16:
	s_mov_b32 s1, exec_lo
	v_cmpx_eq_u32_e64 v5, v1
	s_cbranch_execz .LBB1_18
; %bb.17:
	v_add_co_u32 v6, vcc_lo, s8, v2
	v_add_co_ci_u32_e32 v7, vcc_lo, s9, v3, vcc_lo
	global_store_b32 v[6:7], v4, off
.LBB1_18:
	s_or_b32 exec_lo, exec_lo, s1
	s_delay_alu instid0(SALU_CYCLE_1)
	s_mov_b32 s1, exec_lo
	v_cmpx_lt_i32_e64 v5, v1
	s_cbranch_execz .LBB1_26
; %bb.19:
	v_subrev_nc_u32_e32 v4, s12, v5
	s_mov_b32 s13, 0
	s_mov_b32 s12, exec_lo
	s_delay_alu instid0(VALU_DEP_1)
	v_lshlrev_b32_e32 v4, 2, v4
	ds_load_b32 v5, v4
	s_waitcnt lgkmcnt(0)
	v_cmpx_eq_u32_e32 0, v5
	s_cbranch_execz .LBB1_25
; %bb.20:
	s_mov_b32 s14, 0
	s_branch .LBB1_22
	.p2align	6
.LBB1_21:                               ;   in Loop: Header=BB1_22 Depth=1
	ds_load_b32 v5, v4
	s_cmpk_lt_u32 s14, 0xf43
	s_cselect_b32 s15, -1, 0
	s_delay_alu instid0(SALU_CYCLE_1) | instskip(SKIP_4) | instid1(SALU_CYCLE_1)
	s_cmp_lg_u32 s15, 0
	s_addc_u32 s14, s14, 0
	s_waitcnt lgkmcnt(0)
	v_cmp_ne_u32_e32 vcc_lo, 0, v5
	s_or_b32 s13, vcc_lo, s13
	s_and_not1_b32 exec_lo, exec_lo, s13
	s_cbranch_execz .LBB1_24
.LBB1_22:                               ; =>This Loop Header: Depth=1
                                        ;     Child Loop BB1_23 Depth 2
	s_cmp_eq_u32 s14, 0
	s_mov_b32 s15, s14
	s_cbranch_scc1 .LBB1_21
.LBB1_23:                               ;   Parent Loop BB1_22 Depth=1
                                        ; =>  This Inner Loop Header: Depth=2
	s_add_i32 s15, s15, -1
	s_sleep 1
	s_cmp_eq_u32 s15, 0
	s_cbranch_scc0 .LBB1_23
	s_branch .LBB1_21
.LBB1_24:
	s_or_b32 exec_lo, exec_lo, s13
.LBB1_25:
	s_delay_alu instid0(SALU_CYCLE_1)
	s_or_b32 exec_lo, exec_lo, s12
	v_max_i32_e32 v11, v5, v11
.LBB1_26:
	s_or_b32 exec_lo, exec_lo, s1
.LBB1_27:
	s_delay_alu instid0(SALU_CYCLE_1)
	s_or_b32 exec_lo, exec_lo, s0
	v_mbcnt_lo_u32_b32 v4, -1, 0
	s_waitcnt_vscnt null, 0x0
	buffer_gl0_inv
	v_or_b32_e32 v5, 32, v4
	v_xor_b32_e32 v6, 16, v4
	v_xor_b32_e32 v7, 8, v4
	s_delay_alu instid0(VALU_DEP_3) | instskip(SKIP_1) | instid1(VALU_DEP_4)
	v_cmp_gt_i32_e32 vcc_lo, 32, v5
	v_cndmask_b32_e32 v5, v4, v5, vcc_lo
	v_cmp_gt_i32_e32 vcc_lo, 32, v6
	v_cndmask_b32_e32 v6, v4, v6, vcc_lo
	v_cmp_gt_i32_e32 vcc_lo, 32, v7
	v_cndmask_b32_e32 v7, v4, v7, vcc_lo
	s_delay_alu instid0(VALU_DEP_1) | instskip(NEXT) | instid1(VALU_DEP_4)
	v_lshlrev_b32_e32 v7, 2, v7
	v_lshlrev_b32_e32 v6, 2, v6
	;; [unrolled: 1-line block ×3, first 2 shown]
	ds_bpermute_b32 v5, v5, v11
	s_waitcnt lgkmcnt(0)
	v_max_i32_e32 v5, v11, v5
	ds_bpermute_b32 v6, v6, v5
	s_waitcnt lgkmcnt(0)
	v_max_i32_e32 v5, v5, v6
	ds_bpermute_b32 v6, v7, v5
	v_xor_b32_e32 v7, 4, v4
	s_delay_alu instid0(VALU_DEP_1) | instskip(SKIP_1) | instid1(VALU_DEP_1)
	v_cmp_gt_i32_e32 vcc_lo, 32, v7
	v_cndmask_b32_e32 v7, v4, v7, vcc_lo
	v_lshlrev_b32_e32 v7, 2, v7
	s_waitcnt lgkmcnt(0)
	v_max_i32_e32 v5, v5, v6
	ds_bpermute_b32 v6, v7, v5
	v_xor_b32_e32 v7, 2, v4
	s_delay_alu instid0(VALU_DEP_1) | instskip(SKIP_1) | instid1(VALU_DEP_1)
	v_cmp_gt_i32_e32 vcc_lo, 32, v7
	v_cndmask_b32_e32 v7, v4, v7, vcc_lo
	v_lshlrev_b32_e32 v7, 2, v7
	s_waitcnt lgkmcnt(0)
	v_max_i32_e32 v5, v5, v6
	ds_bpermute_b32 v6, v7, v5
	v_xor_b32_e32 v7, 1, v4
	s_delay_alu instid0(VALU_DEP_1) | instskip(SKIP_4) | instid1(VALU_DEP_3)
	v_cmp_gt_i32_e32 vcc_lo, 32, v7
	v_cndmask_b32_e32 v7, v4, v7, vcc_lo
	v_cmp_eq_u32_e32 vcc_lo, 63, v0
	s_waitcnt lgkmcnt(0)
	v_max_i32_e32 v4, v5, v6
	v_lshlrev_b32_e32 v5, 2, v7
	ds_bpermute_b32 v5, v5, v4
	s_and_b32 exec_lo, exec_lo, vcc_lo
	s_cbranch_execz .LBB1_37
; %bb.28:
	s_waitcnt lgkmcnt(0)
	v_max_i32_e32 v0, v4, v5
	v_add_co_u32 v4, vcc_lo, s10, v2
	v_add_co_ci_u32_e32 v5, vcc_lo, s11, v3, vcc_lo
	s_delay_alu instid0(VALU_DEP_3)
	v_add_nc_u32_e32 v6, 1, v0
	v_sub_nc_u32_e32 v0, v10, v9
	s_mov_b32 s1, exec_lo
	s_brev_b32 s0, 1
	ds_store_b32 v8, v6
	global_store_b32 v[4:5], v6, off
.LBB1_29:                               ; =>This Inner Loop Header: Depth=1
	s_ctz_i32_b32 s10, s1
	s_delay_alu instid0(SALU_CYCLE_1) | instskip(SKIP_1) | instid1(SALU_CYCLE_1)
	v_readlane_b32 s11, v0, s10
	s_lshl_b32 s10, 1, s10
	s_and_not1_b32 s1, s1, s10
	s_delay_alu instid0(VALU_DEP_1)
	s_max_i32 s0, s0, s11
	s_cmp_lg_u32 s1, 0
	s_cbranch_scc1 .LBB1_29
; %bb.30:
	v_mbcnt_lo_u32_b32 v0, exec_lo, 0
	s_mov_b32 s1, exec_lo
	s_delay_alu instid0(VALU_DEP_1)
	v_cmpx_eq_u32_e32 0, v0
	s_xor_b32 s1, exec_lo, s1
	s_cbranch_execz .LBB1_32
; %bb.31:
	v_mov_b32_e32 v0, 0
	v_mov_b32_e32 v4, s0
	global_atomic_max_i32 v0, v4, s[4:5]
.LBB1_32:
	s_or_b32 exec_lo, exec_lo, s1
	v_add_co_u32 v2, vcc_lo, s8, v2
	v_add_co_ci_u32_e32 v3, vcc_lo, s9, v3, vcc_lo
	s_cmp_eq_u32 s3, 0
	s_cselect_b32 s0, -1, 0
	global_load_b32 v0, v[2:3], off
	s_waitcnt vmcnt(0)
	v_cmp_eq_u32_e32 vcc_lo, -1, v0
	s_and_b32 s0, s0, vcc_lo
	s_delay_alu instid0(SALU_CYCLE_1)
	s_and_b32 exec_lo, exec_lo, s0
	s_cbranch_execz .LBB1_37
; %bb.33:
	v_add_nc_u32_e32 v0, s2, v1
	s_mov_b32 s1, exec_lo
	s_brev_b32 s0, -2
.LBB1_34:                               ; =>This Inner Loop Header: Depth=1
	s_ctz_i32_b32 s2, s1
	s_delay_alu instid0(VALU_DEP_1) | instid1(SALU_CYCLE_1)
	v_readlane_b32 s3, v0, s2
	s_lshl_b32 s2, 1, s2
	s_delay_alu instid0(SALU_CYCLE_1) | instskip(NEXT) | instid1(VALU_DEP_1)
	s_and_not1_b32 s1, s1, s2
	s_min_i32 s0, s0, s3
	s_cmp_lg_u32 s1, 0
	s_cbranch_scc1 .LBB1_34
; %bb.35:
	v_mbcnt_lo_u32_b32 v0, exec_lo, 0
	s_mov_b32 s1, exec_lo
	s_delay_alu instid0(VALU_DEP_1)
	v_cmpx_eq_u32_e32 0, v0
	s_xor_b32 s1, exec_lo, s1
	s_cbranch_execz .LBB1_37
; %bb.36:
	v_dual_mov_b32 v0, 0 :: v_dual_mov_b32 v1, s0
	global_atomic_min_i32 v0, v1, s[6:7]
.LBB1_37:
	s_nop 0
	s_sendmsg sendmsg(MSG_DEALLOC_VGPRS)
	s_endpgm
	.section	.rodata,"a",@progbits
	.p2align	6, 0x0
	.amdhsa_kernel _ZN9rocsparseL27csrsv_analysis_lower_kernelILj1024ELj64ELb1EiiEEvT3_PKT2_PKS1_PS2_PiS7_PS1_21rocsparse_index_base_20rocsparse_diag_type_
		.amdhsa_group_segment_fixed_size 64
		.amdhsa_private_segment_fixed_size 0
		.amdhsa_kernarg_size 64
		.amdhsa_user_sgpr_count 15
		.amdhsa_user_sgpr_dispatch_ptr 0
		.amdhsa_user_sgpr_queue_ptr 0
		.amdhsa_user_sgpr_kernarg_segment_ptr 1
		.amdhsa_user_sgpr_dispatch_id 0
		.amdhsa_user_sgpr_private_segment_size 0
		.amdhsa_wavefront_size32 1
		.amdhsa_uses_dynamic_stack 0
		.amdhsa_enable_private_segment 0
		.amdhsa_system_sgpr_workgroup_id_x 1
		.amdhsa_system_sgpr_workgroup_id_y 0
		.amdhsa_system_sgpr_workgroup_id_z 0
		.amdhsa_system_sgpr_workgroup_info 0
		.amdhsa_system_vgpr_workitem_id 0
		.amdhsa_next_free_vgpr 13
		.amdhsa_next_free_sgpr 23
		.amdhsa_reserve_vcc 1
		.amdhsa_float_round_mode_32 0
		.amdhsa_float_round_mode_16_64 0
		.amdhsa_float_denorm_mode_32 3
		.amdhsa_float_denorm_mode_16_64 3
		.amdhsa_dx10_clamp 1
		.amdhsa_ieee_mode 1
		.amdhsa_fp16_overflow 0
		.amdhsa_workgroup_processor_mode 1
		.amdhsa_memory_ordered 1
		.amdhsa_forward_progress 0
		.amdhsa_shared_vgpr_count 0
		.amdhsa_exception_fp_ieee_invalid_op 0
		.amdhsa_exception_fp_denorm_src 0
		.amdhsa_exception_fp_ieee_div_zero 0
		.amdhsa_exception_fp_ieee_overflow 0
		.amdhsa_exception_fp_ieee_underflow 0
		.amdhsa_exception_fp_ieee_inexact 0
		.amdhsa_exception_int_div_zero 0
	.end_amdhsa_kernel
	.section	.text._ZN9rocsparseL27csrsv_analysis_lower_kernelILj1024ELj64ELb1EiiEEvT3_PKT2_PKS1_PS2_PiS7_PS1_21rocsparse_index_base_20rocsparse_diag_type_,"axG",@progbits,_ZN9rocsparseL27csrsv_analysis_lower_kernelILj1024ELj64ELb1EiiEEvT3_PKT2_PKS1_PS2_PiS7_PS1_21rocsparse_index_base_20rocsparse_diag_type_,comdat
.Lfunc_end1:
	.size	_ZN9rocsparseL27csrsv_analysis_lower_kernelILj1024ELj64ELb1EiiEEvT3_PKT2_PKS1_PS2_PiS7_PS1_21rocsparse_index_base_20rocsparse_diag_type_, .Lfunc_end1-_ZN9rocsparseL27csrsv_analysis_lower_kernelILj1024ELj64ELb1EiiEEvT3_PKT2_PKS1_PS2_PiS7_PS1_21rocsparse_index_base_20rocsparse_diag_type_
                                        ; -- End function
	.section	.AMDGPU.csdata,"",@progbits
; Kernel info:
; codeLenInByte = 1356
; NumSgprs: 25
; NumVgprs: 13
; ScratchSize: 0
; MemoryBound: 0
; FloatMode: 240
; IeeeMode: 1
; LDSByteSize: 64 bytes/workgroup (compile time only)
; SGPRBlocks: 3
; VGPRBlocks: 1
; NumSGPRsForWavesPerEU: 25
; NumVGPRsForWavesPerEU: 13
; Occupancy: 16
; WaveLimiterHint : 1
; COMPUTE_PGM_RSRC2:SCRATCH_EN: 0
; COMPUTE_PGM_RSRC2:USER_SGPR: 15
; COMPUTE_PGM_RSRC2:TRAP_HANDLER: 0
; COMPUTE_PGM_RSRC2:TGID_X_EN: 1
; COMPUTE_PGM_RSRC2:TGID_Y_EN: 0
; COMPUTE_PGM_RSRC2:TGID_Z_EN: 0
; COMPUTE_PGM_RSRC2:TIDIG_COMP_CNT: 0
	.section	.text._ZN9rocsparseL27csrsv_analysis_upper_kernelILj1024ELj32ELb0EiiEEvT3_PKT2_PKS1_PS2_PiS7_PS1_21rocsparse_index_base_20rocsparse_diag_type_,"axG",@progbits,_ZN9rocsparseL27csrsv_analysis_upper_kernelILj1024ELj32ELb0EiiEEvT3_PKT2_PKS1_PS2_PiS7_PS1_21rocsparse_index_base_20rocsparse_diag_type_,comdat
	.globl	_ZN9rocsparseL27csrsv_analysis_upper_kernelILj1024ELj32ELb0EiiEEvT3_PKT2_PKS1_PS2_PiS7_PS1_21rocsparse_index_base_20rocsparse_diag_type_ ; -- Begin function _ZN9rocsparseL27csrsv_analysis_upper_kernelILj1024ELj32ELb0EiiEEvT3_PKT2_PKS1_PS2_PiS7_PS1_21rocsparse_index_base_20rocsparse_diag_type_
	.p2align	8
	.type	_ZN9rocsparseL27csrsv_analysis_upper_kernelILj1024ELj32ELb0EiiEEvT3_PKT2_PKS1_PS2_PiS7_PS1_21rocsparse_index_base_20rocsparse_diag_type_,@function
_ZN9rocsparseL27csrsv_analysis_upper_kernelILj1024ELj32ELb0EiiEEvT3_PKT2_PKS1_PS2_PiS7_PS1_21rocsparse_index_base_20rocsparse_diag_type_: ; @_ZN9rocsparseL27csrsv_analysis_upper_kernelILj1024ELj32ELb0EiiEEvT3_PKT2_PKS1_PS2_PiS7_PS1_21rocsparse_index_base_20rocsparse_diag_type_
; %bb.0:
	s_load_b32 s2, s[0:1], 0x0
	s_lshl_b32 s3, s15, 5
	v_lshrrev_b32_e32 v2, 5, v0
	s_not_b32 s12, s3
	s_delay_alu instid0(VALU_DEP_1)
	v_lshlrev_b32_e32 v8, 2, v2
	s_waitcnt lgkmcnt(0)
	s_add_i32 s12, s12, s2
	s_mov_b32 s2, exec_lo
	v_sub_nc_u32_e32 v1, s12, v2
	v_mov_b32_e32 v2, 0
	ds_store_b32 v8, v2
	s_waitcnt lgkmcnt(0)
	s_barrier
	buffer_gl0_inv
	v_cmpx_lt_i32_e32 -1, v1
	s_cbranch_execz .LBB2_32
; %bb.1:
	s_clause 0x1
	s_load_b64 s[2:3], s[0:1], 0x8
	s_load_b128 s[8:11], s[0:1], 0x18
	v_lshlrev_b64 v[2:3], 2, v[1:2]
	v_and_b32_e32 v0, 31, v0
	s_mov_b32 s4, exec_lo
	s_delay_alu instid0(VALU_DEP_1)
	v_cmpx_eq_u32_e32 0, v0
	s_cbranch_execz .LBB2_3
; %bb.2:
	s_waitcnt lgkmcnt(0)
	v_add_co_u32 v4, vcc_lo, s8, v2
	v_add_co_ci_u32_e32 v5, vcc_lo, s9, v3, vcc_lo
	v_mov_b32_e32 v6, -1
	global_store_b32 v[4:5], v6, off
.LBB2_3:
	s_or_b32 exec_lo, exec_lo, s4
	s_waitcnt lgkmcnt(0)
	v_add_co_u32 v4, vcc_lo, s2, v2
	v_add_co_ci_u32_e32 v5, vcc_lo, s3, v3, vcc_lo
	v_mov_b32_e32 v11, 0
	s_mov_b32 s14, -1
	s_mov_b32 s13, exec_lo
	global_load_b64 v[4:5], v[4:5], off
	s_clause 0x1
	s_load_b64 s[2:3], s[0:1], 0x38
	s_load_b128 s[4:7], s[0:1], 0x28
	s_waitcnt vmcnt(0) lgkmcnt(0)
	v_subrev_nc_u32_e32 v9, s2, v5
	v_subrev_nc_u32_e32 v10, s2, v4
	v_mov_b32_e32 v5, -1
	s_delay_alu instid0(VALU_DEP_3) | instskip(NEXT) | instid1(VALU_DEP_1)
	v_xad_u32 v4, v0, -1, v9
	v_cmpx_ge_i32_e64 v4, v10
	s_cbranch_execz .LBB2_13
; %bb.4:
	s_load_b64 s[0:1], s[0:1], 0x10
	v_mov_b32_e32 v11, 0
	s_mov_b32 s14, 0
                                        ; implicit-def: $sgpr15
                                        ; implicit-def: $sgpr17
                                        ; implicit-def: $sgpr16
	s_branch .LBB2_7
.LBB2_5:                                ;   in Loop: Header=BB2_7 Depth=1
	s_or_b32 exec_lo, exec_lo, s19
	v_subrev_nc_u32_e32 v4, 32, v4
	v_max_i32_e32 v11, v12, v11
	s_and_not1_b32 s17, s17, exec_lo
	s_or_b32 s16, s16, exec_lo
	s_delay_alu instid0(VALU_DEP_2) | instskip(SKIP_1) | instid1(SALU_CYCLE_1)
	v_cmp_lt_i32_e32 vcc_lo, v4, v10
	s_and_b32 s19, vcc_lo, exec_lo
	s_or_b32 s17, s17, s19
.LBB2_6:                                ;   in Loop: Header=BB2_7 Depth=1
	s_or_b32 exec_lo, exec_lo, s18
	s_delay_alu instid0(SALU_CYCLE_1) | instskip(NEXT) | instid1(SALU_CYCLE_1)
	s_and_b32 s18, exec_lo, s17
	s_or_b32 s14, s18, s14
	s_and_not1_b32 s15, s15, exec_lo
	s_and_b32 s18, s16, exec_lo
	s_delay_alu instid0(SALU_CYCLE_1)
	s_or_b32 s15, s15, s18
	s_and_not1_b32 exec_lo, exec_lo, s14
	s_cbranch_execz .LBB2_12
.LBB2_7:                                ; =>This Loop Header: Depth=1
                                        ;     Child Loop BB2_10 Depth 2
	v_ashrrev_i32_e32 v5, 31, v4
	s_and_not1_b32 s16, s16, exec_lo
	s_or_b32 s17, s17, exec_lo
	s_mov_b32 s18, exec_lo
	s_delay_alu instid0(VALU_DEP_1) | instskip(SKIP_1) | instid1(VALU_DEP_1)
	v_lshlrev_b64 v[5:6], 2, v[4:5]
	s_waitcnt lgkmcnt(0)
	v_add_co_u32 v5, vcc_lo, s0, v5
	s_delay_alu instid0(VALU_DEP_2) | instskip(SKIP_3) | instid1(VALU_DEP_1)
	v_add_co_ci_u32_e32 v6, vcc_lo, s1, v6, vcc_lo
	global_load_b32 v5, v[5:6], off slc dlc
	s_waitcnt vmcnt(0)
	v_subrev_nc_u32_e32 v5, s2, v5
	v_cmpx_lt_i32_e64 s12, v5
	s_cbranch_execz .LBB2_6
; %bb.8:                                ;   in Loop: Header=BB2_7 Depth=1
	v_ashrrev_i32_e32 v6, 31, v5
	s_mov_b32 s19, exec_lo
	s_delay_alu instid0(VALU_DEP_1) | instskip(NEXT) | instid1(VALU_DEP_1)
	v_lshlrev_b64 v[6:7], 2, v[5:6]
	v_add_co_u32 v6, vcc_lo, s10, v6
	s_delay_alu instid0(VALU_DEP_2)
	v_add_co_ci_u32_e32 v7, vcc_lo, s11, v7, vcc_lo
	global_load_b32 v12, v[6:7], off glc
	s_waitcnt vmcnt(0)
	v_cmpx_eq_u32_e32 0, v12
	s_cbranch_execz .LBB2_5
; %bb.9:                                ;   in Loop: Header=BB2_7 Depth=1
	s_mov_b32 s20, 0
.LBB2_10:                               ;   Parent Loop BB2_7 Depth=1
                                        ; =>  This Inner Loop Header: Depth=2
	global_load_b32 v12, v[6:7], off glc
	s_waitcnt vmcnt(0)
	v_cmp_ne_u32_e32 vcc_lo, 0, v12
	s_or_b32 s20, vcc_lo, s20
	s_delay_alu instid0(SALU_CYCLE_1)
	s_and_not1_b32 exec_lo, exec_lo, s20
	s_cbranch_execnz .LBB2_10
; %bb.11:                               ;   in Loop: Header=BB2_7 Depth=1
	s_or_b32 exec_lo, exec_lo, s20
	s_branch .LBB2_5
.LBB2_12:
	s_or_b32 exec_lo, exec_lo, s14
	s_delay_alu instid0(SALU_CYCLE_1)
	s_or_not1_b32 s14, s15, exec_lo
.LBB2_13:
	s_or_b32 exec_lo, exec_lo, s13
	s_xor_b32 s1, s14, -1
	s_delay_alu instid0(SALU_CYCLE_1)
	s_and_saveexec_b32 s0, s1
	s_cbranch_execz .LBB2_22
; %bb.14:
	s_mov_b32 s1, exec_lo
	v_cmpx_eq_u32_e64 v5, v1
	s_cbranch_execz .LBB2_16
; %bb.15:
	v_add_co_u32 v6, vcc_lo, s8, v2
	v_add_co_ci_u32_e32 v7, vcc_lo, s9, v3, vcc_lo
	global_store_b32 v[6:7], v4, off
.LBB2_16:
	s_or_b32 exec_lo, exec_lo, s1
	s_delay_alu instid0(SALU_CYCLE_1)
	s_mov_b32 s1, exec_lo
	v_cmpx_gt_i32_e64 v5, v1
	s_cbranch_execz .LBB2_21
; %bb.17:
	v_sub_nc_u32_e32 v4, s12, v5
	s_mov_b32 s13, 0
	s_mov_b32 s12, exec_lo
	s_delay_alu instid0(VALU_DEP_1)
	v_lshlrev_b32_e32 v5, 2, v4
	ds_load_b32 v4, v5
	s_waitcnt lgkmcnt(0)
	v_cmpx_eq_u32_e32 0, v4
	s_cbranch_execz .LBB2_20
.LBB2_18:                               ; =>This Inner Loop Header: Depth=1
	ds_load_b32 v4, v5
	s_waitcnt lgkmcnt(0)
	v_cmp_ne_u32_e32 vcc_lo, 0, v4
	s_or_b32 s13, vcc_lo, s13
	s_delay_alu instid0(SALU_CYCLE_1)
	s_and_not1_b32 exec_lo, exec_lo, s13
	s_cbranch_execnz .LBB2_18
; %bb.19:
	s_or_b32 exec_lo, exec_lo, s13
.LBB2_20:
	s_delay_alu instid0(SALU_CYCLE_1)
	s_or_b32 exec_lo, exec_lo, s12
	v_max_i32_e32 v11, v4, v11
.LBB2_21:
	s_or_b32 exec_lo, exec_lo, s1
.LBB2_22:
	s_delay_alu instid0(SALU_CYCLE_1)
	s_or_b32 exec_lo, exec_lo, s0
	v_mbcnt_lo_u32_b32 v4, -1, 0
	s_waitcnt_vscnt null, 0x0
	buffer_gl0_inv
	v_xor_b32_e32 v5, 16, v4
	v_xor_b32_e32 v6, 8, v4
	;; [unrolled: 1-line block ×3, first 2 shown]
	s_delay_alu instid0(VALU_DEP_3) | instskip(SKIP_1) | instid1(VALU_DEP_4)
	v_cmp_gt_i32_e32 vcc_lo, 32, v5
	v_cndmask_b32_e32 v5, v4, v5, vcc_lo
	v_cmp_gt_i32_e32 vcc_lo, 32, v6
	v_cndmask_b32_e32 v6, v4, v6, vcc_lo
	;; [unrolled: 2-line block ×3, first 2 shown]
	s_delay_alu instid0(VALU_DEP_1) | instskip(NEXT) | instid1(VALU_DEP_4)
	v_lshlrev_b32_e32 v7, 2, v7
	v_lshlrev_b32_e32 v6, 2, v6
	;; [unrolled: 1-line block ×3, first 2 shown]
	ds_bpermute_b32 v5, v5, v11
	s_waitcnt lgkmcnt(0)
	v_max_i32_e32 v5, v11, v5
	ds_bpermute_b32 v6, v6, v5
	s_waitcnt lgkmcnt(0)
	v_max_i32_e32 v5, v5, v6
	ds_bpermute_b32 v6, v7, v5
	v_xor_b32_e32 v7, 2, v4
	s_delay_alu instid0(VALU_DEP_1) | instskip(SKIP_1) | instid1(VALU_DEP_1)
	v_cmp_gt_i32_e32 vcc_lo, 32, v7
	v_cndmask_b32_e32 v7, v4, v7, vcc_lo
	v_lshlrev_b32_e32 v7, 2, v7
	s_waitcnt lgkmcnt(0)
	v_max_i32_e32 v5, v5, v6
	ds_bpermute_b32 v6, v7, v5
	v_xor_b32_e32 v7, 1, v4
	s_delay_alu instid0(VALU_DEP_1) | instskip(SKIP_4) | instid1(VALU_DEP_3)
	v_cmp_gt_i32_e32 vcc_lo, 32, v7
	v_cndmask_b32_e32 v7, v4, v7, vcc_lo
	v_cmp_eq_u32_e32 vcc_lo, 31, v0
	s_waitcnt lgkmcnt(0)
	v_max_i32_e32 v4, v5, v6
	v_lshlrev_b32_e32 v5, 2, v7
	ds_bpermute_b32 v5, v5, v4
	s_and_b32 exec_lo, exec_lo, vcc_lo
	s_cbranch_execz .LBB2_32
; %bb.23:
	s_waitcnt lgkmcnt(0)
	v_max_i32_e32 v0, v4, v5
	v_add_co_u32 v4, vcc_lo, s10, v2
	v_add_co_ci_u32_e32 v5, vcc_lo, s11, v3, vcc_lo
	s_delay_alu instid0(VALU_DEP_3)
	v_add_nc_u32_e32 v6, 1, v0
	v_sub_nc_u32_e32 v0, v9, v10
	s_mov_b32 s1, exec_lo
	s_brev_b32 s0, 1
	ds_store_b32 v8, v6
	global_store_b32 v[4:5], v6, off
.LBB2_24:                               ; =>This Inner Loop Header: Depth=1
	s_ctz_i32_b32 s10, s1
	s_delay_alu instid0(SALU_CYCLE_1) | instskip(SKIP_1) | instid1(SALU_CYCLE_1)
	v_readlane_b32 s11, v0, s10
	s_lshl_b32 s10, 1, s10
	s_and_not1_b32 s1, s1, s10
	s_delay_alu instid0(VALU_DEP_1)
	s_max_i32 s0, s0, s11
	s_cmp_lg_u32 s1, 0
	s_cbranch_scc1 .LBB2_24
; %bb.25:
	v_mbcnt_lo_u32_b32 v0, exec_lo, 0
	s_mov_b32 s1, exec_lo
	s_delay_alu instid0(VALU_DEP_1)
	v_cmpx_eq_u32_e32 0, v0
	s_xor_b32 s1, exec_lo, s1
	s_cbranch_execz .LBB2_27
; %bb.26:
	v_mov_b32_e32 v0, 0
	v_mov_b32_e32 v4, s0
	global_atomic_max_i32 v0, v4, s[4:5]
.LBB2_27:
	s_or_b32 exec_lo, exec_lo, s1
	v_add_co_u32 v2, vcc_lo, s8, v2
	v_add_co_ci_u32_e32 v3, vcc_lo, s9, v3, vcc_lo
	s_cmp_eq_u32 s3, 0
	s_cselect_b32 s0, -1, 0
	global_load_b32 v0, v[2:3], off
	s_waitcnt vmcnt(0)
	v_cmp_eq_u32_e32 vcc_lo, -1, v0
	s_and_b32 s0, s0, vcc_lo
	s_delay_alu instid0(SALU_CYCLE_1)
	s_and_b32 exec_lo, exec_lo, s0
	s_cbranch_execz .LBB2_32
; %bb.28:
	v_add_nc_u32_e32 v0, s2, v1
	s_mov_b32 s1, exec_lo
	s_brev_b32 s0, -2
.LBB2_29:                               ; =>This Inner Loop Header: Depth=1
	s_ctz_i32_b32 s2, s1
	s_delay_alu instid0(VALU_DEP_1) | instid1(SALU_CYCLE_1)
	v_readlane_b32 s3, v0, s2
	s_lshl_b32 s2, 1, s2
	s_delay_alu instid0(SALU_CYCLE_1) | instskip(NEXT) | instid1(VALU_DEP_1)
	s_and_not1_b32 s1, s1, s2
	s_min_i32 s0, s0, s3
	s_cmp_lg_u32 s1, 0
	s_cbranch_scc1 .LBB2_29
; %bb.30:
	v_mbcnt_lo_u32_b32 v0, exec_lo, 0
	s_mov_b32 s1, exec_lo
	s_delay_alu instid0(VALU_DEP_1)
	v_cmpx_eq_u32_e32 0, v0
	s_xor_b32 s1, exec_lo, s1
	s_cbranch_execz .LBB2_32
; %bb.31:
	v_dual_mov_b32 v0, 0 :: v_dual_mov_b32 v1, s0
	global_atomic_min_i32 v0, v1, s[6:7]
.LBB2_32:
	s_nop 0
	s_sendmsg sendmsg(MSG_DEALLOC_VGPRS)
	s_endpgm
	.section	.rodata,"a",@progbits
	.p2align	6, 0x0
	.amdhsa_kernel _ZN9rocsparseL27csrsv_analysis_upper_kernelILj1024ELj32ELb0EiiEEvT3_PKT2_PKS1_PS2_PiS7_PS1_21rocsparse_index_base_20rocsparse_diag_type_
		.amdhsa_group_segment_fixed_size 128
		.amdhsa_private_segment_fixed_size 0
		.amdhsa_kernarg_size 64
		.amdhsa_user_sgpr_count 15
		.amdhsa_user_sgpr_dispatch_ptr 0
		.amdhsa_user_sgpr_queue_ptr 0
		.amdhsa_user_sgpr_kernarg_segment_ptr 1
		.amdhsa_user_sgpr_dispatch_id 0
		.amdhsa_user_sgpr_private_segment_size 0
		.amdhsa_wavefront_size32 1
		.amdhsa_uses_dynamic_stack 0
		.amdhsa_enable_private_segment 0
		.amdhsa_system_sgpr_workgroup_id_x 1
		.amdhsa_system_sgpr_workgroup_id_y 0
		.amdhsa_system_sgpr_workgroup_id_z 0
		.amdhsa_system_sgpr_workgroup_info 0
		.amdhsa_system_vgpr_workitem_id 0
		.amdhsa_next_free_vgpr 13
		.amdhsa_next_free_sgpr 21
		.amdhsa_reserve_vcc 1
		.amdhsa_float_round_mode_32 0
		.amdhsa_float_round_mode_16_64 0
		.amdhsa_float_denorm_mode_32 3
		.amdhsa_float_denorm_mode_16_64 3
		.amdhsa_dx10_clamp 1
		.amdhsa_ieee_mode 1
		.amdhsa_fp16_overflow 0
		.amdhsa_workgroup_processor_mode 1
		.amdhsa_memory_ordered 1
		.amdhsa_forward_progress 0
		.amdhsa_shared_vgpr_count 0
		.amdhsa_exception_fp_ieee_invalid_op 0
		.amdhsa_exception_fp_denorm_src 0
		.amdhsa_exception_fp_ieee_div_zero 0
		.amdhsa_exception_fp_ieee_overflow 0
		.amdhsa_exception_fp_ieee_underflow 0
		.amdhsa_exception_fp_ieee_inexact 0
		.amdhsa_exception_int_div_zero 0
	.end_amdhsa_kernel
	.section	.text._ZN9rocsparseL27csrsv_analysis_upper_kernelILj1024ELj32ELb0EiiEEvT3_PKT2_PKS1_PS2_PiS7_PS1_21rocsparse_index_base_20rocsparse_diag_type_,"axG",@progbits,_ZN9rocsparseL27csrsv_analysis_upper_kernelILj1024ELj32ELb0EiiEEvT3_PKT2_PKS1_PS2_PiS7_PS1_21rocsparse_index_base_20rocsparse_diag_type_,comdat
.Lfunc_end2:
	.size	_ZN9rocsparseL27csrsv_analysis_upper_kernelILj1024ELj32ELb0EiiEEvT3_PKT2_PKS1_PS2_PiS7_PS1_21rocsparse_index_base_20rocsparse_diag_type_, .Lfunc_end2-_ZN9rocsparseL27csrsv_analysis_upper_kernelILj1024ELj32ELb0EiiEEvT3_PKT2_PKS1_PS2_PiS7_PS1_21rocsparse_index_base_20rocsparse_diag_type_
                                        ; -- End function
	.section	.AMDGPU.csdata,"",@progbits
; Kernel info:
; codeLenInByte = 1224
; NumSgprs: 23
; NumVgprs: 13
; ScratchSize: 0
; MemoryBound: 0
; FloatMode: 240
; IeeeMode: 1
; LDSByteSize: 128 bytes/workgroup (compile time only)
; SGPRBlocks: 2
; VGPRBlocks: 1
; NumSGPRsForWavesPerEU: 23
; NumVGPRsForWavesPerEU: 13
; Occupancy: 16
; WaveLimiterHint : 1
; COMPUTE_PGM_RSRC2:SCRATCH_EN: 0
; COMPUTE_PGM_RSRC2:USER_SGPR: 15
; COMPUTE_PGM_RSRC2:TRAP_HANDLER: 0
; COMPUTE_PGM_RSRC2:TGID_X_EN: 1
; COMPUTE_PGM_RSRC2:TGID_Y_EN: 0
; COMPUTE_PGM_RSRC2:TGID_Z_EN: 0
; COMPUTE_PGM_RSRC2:TIDIG_COMP_CNT: 0
	.section	.text._ZN9rocsparseL27csrsv_analysis_lower_kernelILj1024ELj32ELb0EiiEEvT3_PKT2_PKS1_PS2_PiS7_PS1_21rocsparse_index_base_20rocsparse_diag_type_,"axG",@progbits,_ZN9rocsparseL27csrsv_analysis_lower_kernelILj1024ELj32ELb0EiiEEvT3_PKT2_PKS1_PS2_PiS7_PS1_21rocsparse_index_base_20rocsparse_diag_type_,comdat
	.globl	_ZN9rocsparseL27csrsv_analysis_lower_kernelILj1024ELj32ELb0EiiEEvT3_PKT2_PKS1_PS2_PiS7_PS1_21rocsparse_index_base_20rocsparse_diag_type_ ; -- Begin function _ZN9rocsparseL27csrsv_analysis_lower_kernelILj1024ELj32ELb0EiiEEvT3_PKT2_PKS1_PS2_PiS7_PS1_21rocsparse_index_base_20rocsparse_diag_type_
	.p2align	8
	.type	_ZN9rocsparseL27csrsv_analysis_lower_kernelILj1024ELj32ELb0EiiEEvT3_PKT2_PKS1_PS2_PiS7_PS1_21rocsparse_index_base_20rocsparse_diag_type_,@function
_ZN9rocsparseL27csrsv_analysis_lower_kernelILj1024ELj32ELb0EiiEEvT3_PKT2_PKS1_PS2_PiS7_PS1_21rocsparse_index_base_20rocsparse_diag_type_: ; @_ZN9rocsparseL27csrsv_analysis_lower_kernelILj1024ELj32ELb0EiiEEvT3_PKT2_PKS1_PS2_PiS7_PS1_21rocsparse_index_base_20rocsparse_diag_type_
; %bb.0:
	s_load_b32 s2, s[0:1], 0x0
	v_lshrrev_b32_e32 v2, 5, v0
	s_lshl_b32 s12, s15, 5
	s_delay_alu instid0(VALU_DEP_1) | instid1(SALU_CYCLE_1)
	v_or_b32_e32 v1, s12, v2
	v_lshlrev_b32_e32 v8, 2, v2
	v_mov_b32_e32 v2, 0
	ds_store_b32 v8, v2
	s_waitcnt lgkmcnt(0)
	s_barrier
	buffer_gl0_inv
	v_cmp_gt_i32_e32 vcc_lo, s2, v1
	s_and_saveexec_b32 s2, vcc_lo
	s_cbranch_execz .LBB3_32
; %bb.1:
	s_clause 0x1
	s_load_b64 s[2:3], s[0:1], 0x8
	s_load_b128 s[8:11], s[0:1], 0x18
	v_ashrrev_i32_e32 v2, 31, v1
	v_and_b32_e32 v0, 31, v0
	s_mov_b32 s14, 0
	s_mov_b32 s4, exec_lo
	s_delay_alu instid0(VALU_DEP_2) | instskip(NEXT) | instid1(VALU_DEP_2)
	v_lshlrev_b64 v[2:3], 2, v[1:2]
	v_cmpx_eq_u32_e32 0, v0
	s_cbranch_execz .LBB3_3
; %bb.2:
	s_waitcnt lgkmcnt(0)
	s_delay_alu instid0(VALU_DEP_2) | instskip(NEXT) | instid1(VALU_DEP_3)
	v_add_co_u32 v4, vcc_lo, s8, v2
	v_add_co_ci_u32_e32 v5, vcc_lo, s9, v3, vcc_lo
	v_mov_b32_e32 v6, -1
	global_store_b32 v[4:5], v6, off
.LBB3_3:
	s_or_b32 exec_lo, exec_lo, s4
	s_waitcnt lgkmcnt(0)
	s_delay_alu instid0(VALU_DEP_2)
	v_add_co_u32 v4, vcc_lo, s2, v2
	v_add_co_ci_u32_e32 v5, vcc_lo, s3, v3, vcc_lo
	v_mov_b32_e32 v11, 0
	s_mov_b32 s13, exec_lo
	global_load_b64 v[4:5], v[4:5], off
	s_clause 0x1
	s_load_b64 s[2:3], s[0:1], 0x38
	s_load_b128 s[4:7], s[0:1], 0x28
	s_waitcnt vmcnt(0) lgkmcnt(0)
	v_subrev_nc_u32_e32 v9, s2, v4
	v_subrev_nc_u32_e32 v10, s2, v5
	s_delay_alu instid0(VALU_DEP_2) | instskip(NEXT) | instid1(VALU_DEP_1)
	v_dual_mov_b32 v5, -1 :: v_dual_add_nc_u32 v4, v9, v0
	v_cmpx_lt_i32_e64 v4, v10
	s_cbranch_execz .LBB3_13
; %bb.4:
	s_load_b64 s[0:1], s[0:1], 0x10
	v_mov_b32_e32 v11, 0
                                        ; implicit-def: $sgpr15
                                        ; implicit-def: $sgpr17
                                        ; implicit-def: $sgpr16
	s_branch .LBB3_7
.LBB3_5:                                ;   in Loop: Header=BB3_7 Depth=1
	s_or_b32 exec_lo, exec_lo, s19
	v_add_nc_u32_e32 v4, 32, v4
	v_max_i32_e32 v11, v12, v11
	s_and_not1_b32 s17, s17, exec_lo
	s_and_not1_b32 s16, s16, exec_lo
	s_delay_alu instid0(VALU_DEP_2) | instskip(SKIP_1) | instid1(SALU_CYCLE_1)
	v_cmp_ge_i32_e32 vcc_lo, v4, v10
	s_and_b32 s19, vcc_lo, exec_lo
	s_or_b32 s17, s17, s19
.LBB3_6:                                ;   in Loop: Header=BB3_7 Depth=1
	s_or_b32 exec_lo, exec_lo, s18
	s_delay_alu instid0(SALU_CYCLE_1) | instskip(NEXT) | instid1(SALU_CYCLE_1)
	s_and_b32 s18, exec_lo, s17
	s_or_b32 s14, s18, s14
	s_and_not1_b32 s15, s15, exec_lo
	s_and_b32 s18, s16, exec_lo
	s_delay_alu instid0(SALU_CYCLE_1)
	s_or_b32 s15, s15, s18
	s_and_not1_b32 exec_lo, exec_lo, s14
	s_cbranch_execz .LBB3_12
.LBB3_7:                                ; =>This Loop Header: Depth=1
                                        ;     Child Loop BB3_10 Depth 2
	v_ashrrev_i32_e32 v5, 31, v4
	s_or_b32 s16, s16, exec_lo
	s_or_b32 s17, s17, exec_lo
	s_mov_b32 s18, exec_lo
	s_delay_alu instid0(VALU_DEP_1) | instskip(SKIP_1) | instid1(VALU_DEP_1)
	v_lshlrev_b64 v[5:6], 2, v[4:5]
	s_waitcnt lgkmcnt(0)
	v_add_co_u32 v5, vcc_lo, s0, v5
	s_delay_alu instid0(VALU_DEP_2) | instskip(SKIP_3) | instid1(VALU_DEP_1)
	v_add_co_ci_u32_e32 v6, vcc_lo, s1, v6, vcc_lo
	global_load_b32 v5, v[5:6], off slc dlc
	s_waitcnt vmcnt(0)
	v_subrev_nc_u32_e32 v5, s2, v5
	v_cmpx_gt_i32_e64 s12, v5
	s_cbranch_execz .LBB3_6
; %bb.8:                                ;   in Loop: Header=BB3_7 Depth=1
	v_ashrrev_i32_e32 v6, 31, v5
	s_mov_b32 s19, exec_lo
	s_delay_alu instid0(VALU_DEP_1) | instskip(NEXT) | instid1(VALU_DEP_1)
	v_lshlrev_b64 v[6:7], 2, v[5:6]
	v_add_co_u32 v6, vcc_lo, s10, v6
	s_delay_alu instid0(VALU_DEP_2)
	v_add_co_ci_u32_e32 v7, vcc_lo, s11, v7, vcc_lo
	global_load_b32 v12, v[6:7], off glc
	s_waitcnt vmcnt(0)
	v_cmpx_eq_u32_e32 0, v12
	s_cbranch_execz .LBB3_5
; %bb.9:                                ;   in Loop: Header=BB3_7 Depth=1
	s_mov_b32 s20, 0
.LBB3_10:                               ;   Parent Loop BB3_7 Depth=1
                                        ; =>  This Inner Loop Header: Depth=2
	global_load_b32 v12, v[6:7], off glc
	s_waitcnt vmcnt(0)
	v_cmp_ne_u32_e32 vcc_lo, 0, v12
	s_or_b32 s20, vcc_lo, s20
	s_delay_alu instid0(SALU_CYCLE_1)
	s_and_not1_b32 exec_lo, exec_lo, s20
	s_cbranch_execnz .LBB3_10
; %bb.11:                               ;   in Loop: Header=BB3_7 Depth=1
	s_or_b32 exec_lo, exec_lo, s20
	s_branch .LBB3_5
.LBB3_12:
	s_or_b32 exec_lo, exec_lo, s14
	s_delay_alu instid0(SALU_CYCLE_1)
	s_and_b32 s14, s15, exec_lo
.LBB3_13:
	s_or_b32 exec_lo, exec_lo, s13
	s_and_saveexec_b32 s0, s14
	s_cbranch_execz .LBB3_22
; %bb.14:
	s_mov_b32 s1, exec_lo
	v_cmpx_eq_u32_e64 v5, v1
	s_cbranch_execz .LBB3_16
; %bb.15:
	v_add_co_u32 v6, vcc_lo, s8, v2
	v_add_co_ci_u32_e32 v7, vcc_lo, s9, v3, vcc_lo
	global_store_b32 v[6:7], v4, off
.LBB3_16:
	s_or_b32 exec_lo, exec_lo, s1
	s_delay_alu instid0(SALU_CYCLE_1)
	s_mov_b32 s1, exec_lo
	v_cmpx_lt_i32_e64 v5, v1
	s_cbranch_execz .LBB3_21
; %bb.17:
	v_subrev_nc_u32_e32 v4, s12, v5
	s_mov_b32 s13, 0
	s_mov_b32 s12, exec_lo
	s_delay_alu instid0(VALU_DEP_1)
	v_lshlrev_b32_e32 v5, 2, v4
	ds_load_b32 v4, v5
	s_waitcnt lgkmcnt(0)
	v_cmpx_eq_u32_e32 0, v4
	s_cbranch_execz .LBB3_20
.LBB3_18:                               ; =>This Inner Loop Header: Depth=1
	ds_load_b32 v4, v5
	s_waitcnt lgkmcnt(0)
	v_cmp_ne_u32_e32 vcc_lo, 0, v4
	s_or_b32 s13, vcc_lo, s13
	s_delay_alu instid0(SALU_CYCLE_1)
	s_and_not1_b32 exec_lo, exec_lo, s13
	s_cbranch_execnz .LBB3_18
; %bb.19:
	s_or_b32 exec_lo, exec_lo, s13
.LBB3_20:
	s_delay_alu instid0(SALU_CYCLE_1)
	s_or_b32 exec_lo, exec_lo, s12
	v_max_i32_e32 v11, v4, v11
.LBB3_21:
	s_or_b32 exec_lo, exec_lo, s1
.LBB3_22:
	s_delay_alu instid0(SALU_CYCLE_1)
	s_or_b32 exec_lo, exec_lo, s0
	v_mbcnt_lo_u32_b32 v4, -1, 0
	s_waitcnt_vscnt null, 0x0
	buffer_gl0_inv
	v_xor_b32_e32 v5, 16, v4
	v_xor_b32_e32 v6, 8, v4
	;; [unrolled: 1-line block ×3, first 2 shown]
	s_delay_alu instid0(VALU_DEP_3) | instskip(SKIP_1) | instid1(VALU_DEP_4)
	v_cmp_gt_i32_e32 vcc_lo, 32, v5
	v_cndmask_b32_e32 v5, v4, v5, vcc_lo
	v_cmp_gt_i32_e32 vcc_lo, 32, v6
	v_cndmask_b32_e32 v6, v4, v6, vcc_lo
	;; [unrolled: 2-line block ×3, first 2 shown]
	s_delay_alu instid0(VALU_DEP_1) | instskip(NEXT) | instid1(VALU_DEP_4)
	v_lshlrev_b32_e32 v7, 2, v7
	v_lshlrev_b32_e32 v6, 2, v6
	;; [unrolled: 1-line block ×3, first 2 shown]
	ds_bpermute_b32 v5, v5, v11
	s_waitcnt lgkmcnt(0)
	v_max_i32_e32 v5, v11, v5
	ds_bpermute_b32 v6, v6, v5
	s_waitcnt lgkmcnt(0)
	v_max_i32_e32 v5, v5, v6
	ds_bpermute_b32 v6, v7, v5
	v_xor_b32_e32 v7, 2, v4
	s_delay_alu instid0(VALU_DEP_1) | instskip(SKIP_1) | instid1(VALU_DEP_1)
	v_cmp_gt_i32_e32 vcc_lo, 32, v7
	v_cndmask_b32_e32 v7, v4, v7, vcc_lo
	v_lshlrev_b32_e32 v7, 2, v7
	s_waitcnt lgkmcnt(0)
	v_max_i32_e32 v5, v5, v6
	ds_bpermute_b32 v6, v7, v5
	v_xor_b32_e32 v7, 1, v4
	s_delay_alu instid0(VALU_DEP_1) | instskip(SKIP_4) | instid1(VALU_DEP_3)
	v_cmp_gt_i32_e32 vcc_lo, 32, v7
	v_cndmask_b32_e32 v7, v4, v7, vcc_lo
	v_cmp_eq_u32_e32 vcc_lo, 31, v0
	s_waitcnt lgkmcnt(0)
	v_max_i32_e32 v4, v5, v6
	v_lshlrev_b32_e32 v5, 2, v7
	ds_bpermute_b32 v5, v5, v4
	s_and_b32 exec_lo, exec_lo, vcc_lo
	s_cbranch_execz .LBB3_32
; %bb.23:
	s_waitcnt lgkmcnt(0)
	v_max_i32_e32 v0, v4, v5
	v_add_co_u32 v4, vcc_lo, s10, v2
	v_add_co_ci_u32_e32 v5, vcc_lo, s11, v3, vcc_lo
	s_delay_alu instid0(VALU_DEP_3)
	v_add_nc_u32_e32 v6, 1, v0
	v_sub_nc_u32_e32 v0, v10, v9
	s_mov_b32 s1, exec_lo
	s_brev_b32 s0, 1
	ds_store_b32 v8, v6
	global_store_b32 v[4:5], v6, off
.LBB3_24:                               ; =>This Inner Loop Header: Depth=1
	s_ctz_i32_b32 s10, s1
	s_delay_alu instid0(SALU_CYCLE_1) | instskip(SKIP_1) | instid1(SALU_CYCLE_1)
	v_readlane_b32 s11, v0, s10
	s_lshl_b32 s10, 1, s10
	s_and_not1_b32 s1, s1, s10
	s_delay_alu instid0(VALU_DEP_1)
	s_max_i32 s0, s0, s11
	s_cmp_lg_u32 s1, 0
	s_cbranch_scc1 .LBB3_24
; %bb.25:
	v_mbcnt_lo_u32_b32 v0, exec_lo, 0
	s_mov_b32 s1, exec_lo
	s_delay_alu instid0(VALU_DEP_1)
	v_cmpx_eq_u32_e32 0, v0
	s_xor_b32 s1, exec_lo, s1
	s_cbranch_execz .LBB3_27
; %bb.26:
	v_mov_b32_e32 v0, 0
	v_mov_b32_e32 v4, s0
	global_atomic_max_i32 v0, v4, s[4:5]
.LBB3_27:
	s_or_b32 exec_lo, exec_lo, s1
	v_add_co_u32 v2, vcc_lo, s8, v2
	v_add_co_ci_u32_e32 v3, vcc_lo, s9, v3, vcc_lo
	s_cmp_eq_u32 s3, 0
	s_cselect_b32 s0, -1, 0
	global_load_b32 v0, v[2:3], off
	s_waitcnt vmcnt(0)
	v_cmp_eq_u32_e32 vcc_lo, -1, v0
	s_and_b32 s0, s0, vcc_lo
	s_delay_alu instid0(SALU_CYCLE_1)
	s_and_b32 exec_lo, exec_lo, s0
	s_cbranch_execz .LBB3_32
; %bb.28:
	v_add_nc_u32_e32 v0, s2, v1
	s_mov_b32 s1, exec_lo
	s_brev_b32 s0, -2
.LBB3_29:                               ; =>This Inner Loop Header: Depth=1
	s_ctz_i32_b32 s2, s1
	s_delay_alu instid0(VALU_DEP_1) | instid1(SALU_CYCLE_1)
	v_readlane_b32 s3, v0, s2
	s_lshl_b32 s2, 1, s2
	s_delay_alu instid0(SALU_CYCLE_1) | instskip(NEXT) | instid1(VALU_DEP_1)
	s_and_not1_b32 s1, s1, s2
	s_min_i32 s0, s0, s3
	s_cmp_lg_u32 s1, 0
	s_cbranch_scc1 .LBB3_29
; %bb.30:
	v_mbcnt_lo_u32_b32 v0, exec_lo, 0
	s_mov_b32 s1, exec_lo
	s_delay_alu instid0(VALU_DEP_1)
	v_cmpx_eq_u32_e32 0, v0
	s_xor_b32 s1, exec_lo, s1
	s_cbranch_execz .LBB3_32
; %bb.31:
	v_dual_mov_b32 v0, 0 :: v_dual_mov_b32 v1, s0
	global_atomic_min_i32 v0, v1, s[6:7]
.LBB3_32:
	s_nop 0
	s_sendmsg sendmsg(MSG_DEALLOC_VGPRS)
	s_endpgm
	.section	.rodata,"a",@progbits
	.p2align	6, 0x0
	.amdhsa_kernel _ZN9rocsparseL27csrsv_analysis_lower_kernelILj1024ELj32ELb0EiiEEvT3_PKT2_PKS1_PS2_PiS7_PS1_21rocsparse_index_base_20rocsparse_diag_type_
		.amdhsa_group_segment_fixed_size 128
		.amdhsa_private_segment_fixed_size 0
		.amdhsa_kernarg_size 64
		.amdhsa_user_sgpr_count 15
		.amdhsa_user_sgpr_dispatch_ptr 0
		.amdhsa_user_sgpr_queue_ptr 0
		.amdhsa_user_sgpr_kernarg_segment_ptr 1
		.amdhsa_user_sgpr_dispatch_id 0
		.amdhsa_user_sgpr_private_segment_size 0
		.amdhsa_wavefront_size32 1
		.amdhsa_uses_dynamic_stack 0
		.amdhsa_enable_private_segment 0
		.amdhsa_system_sgpr_workgroup_id_x 1
		.amdhsa_system_sgpr_workgroup_id_y 0
		.amdhsa_system_sgpr_workgroup_id_z 0
		.amdhsa_system_sgpr_workgroup_info 0
		.amdhsa_system_vgpr_workitem_id 0
		.amdhsa_next_free_vgpr 13
		.amdhsa_next_free_sgpr 21
		.amdhsa_reserve_vcc 1
		.amdhsa_float_round_mode_32 0
		.amdhsa_float_round_mode_16_64 0
		.amdhsa_float_denorm_mode_32 3
		.amdhsa_float_denorm_mode_16_64 3
		.amdhsa_dx10_clamp 1
		.amdhsa_ieee_mode 1
		.amdhsa_fp16_overflow 0
		.amdhsa_workgroup_processor_mode 1
		.amdhsa_memory_ordered 1
		.amdhsa_forward_progress 0
		.amdhsa_shared_vgpr_count 0
		.amdhsa_exception_fp_ieee_invalid_op 0
		.amdhsa_exception_fp_denorm_src 0
		.amdhsa_exception_fp_ieee_div_zero 0
		.amdhsa_exception_fp_ieee_overflow 0
		.amdhsa_exception_fp_ieee_underflow 0
		.amdhsa_exception_fp_ieee_inexact 0
		.amdhsa_exception_int_div_zero 0
	.end_amdhsa_kernel
	.section	.text._ZN9rocsparseL27csrsv_analysis_lower_kernelILj1024ELj32ELb0EiiEEvT3_PKT2_PKS1_PS2_PiS7_PS1_21rocsparse_index_base_20rocsparse_diag_type_,"axG",@progbits,_ZN9rocsparseL27csrsv_analysis_lower_kernelILj1024ELj32ELb0EiiEEvT3_PKT2_PKS1_PS2_PiS7_PS1_21rocsparse_index_base_20rocsparse_diag_type_,comdat
.Lfunc_end3:
	.size	_ZN9rocsparseL27csrsv_analysis_lower_kernelILj1024ELj32ELb0EiiEEvT3_PKT2_PKS1_PS2_PiS7_PS1_21rocsparse_index_base_20rocsparse_diag_type_, .Lfunc_end3-_ZN9rocsparseL27csrsv_analysis_lower_kernelILj1024ELj32ELb0EiiEEvT3_PKT2_PKS1_PS2_PiS7_PS1_21rocsparse_index_base_20rocsparse_diag_type_
                                        ; -- End function
	.section	.AMDGPU.csdata,"",@progbits
; Kernel info:
; codeLenInByte = 1208
; NumSgprs: 23
; NumVgprs: 13
; ScratchSize: 0
; MemoryBound: 0
; FloatMode: 240
; IeeeMode: 1
; LDSByteSize: 128 bytes/workgroup (compile time only)
; SGPRBlocks: 2
; VGPRBlocks: 1
; NumSGPRsForWavesPerEU: 23
; NumVGPRsForWavesPerEU: 13
; Occupancy: 16
; WaveLimiterHint : 1
; COMPUTE_PGM_RSRC2:SCRATCH_EN: 0
; COMPUTE_PGM_RSRC2:USER_SGPR: 15
; COMPUTE_PGM_RSRC2:TRAP_HANDLER: 0
; COMPUTE_PGM_RSRC2:TGID_X_EN: 1
; COMPUTE_PGM_RSRC2:TGID_Y_EN: 0
; COMPUTE_PGM_RSRC2:TGID_Z_EN: 0
; COMPUTE_PGM_RSRC2:TIDIG_COMP_CNT: 0
	.section	.text._ZN9rocsparseL27csrsv_analysis_upper_kernelILj1024ELj64ELb0EiiEEvT3_PKT2_PKS1_PS2_PiS7_PS1_21rocsparse_index_base_20rocsparse_diag_type_,"axG",@progbits,_ZN9rocsparseL27csrsv_analysis_upper_kernelILj1024ELj64ELb0EiiEEvT3_PKT2_PKS1_PS2_PiS7_PS1_21rocsparse_index_base_20rocsparse_diag_type_,comdat
	.globl	_ZN9rocsparseL27csrsv_analysis_upper_kernelILj1024ELj64ELb0EiiEEvT3_PKT2_PKS1_PS2_PiS7_PS1_21rocsparse_index_base_20rocsparse_diag_type_ ; -- Begin function _ZN9rocsparseL27csrsv_analysis_upper_kernelILj1024ELj64ELb0EiiEEvT3_PKT2_PKS1_PS2_PiS7_PS1_21rocsparse_index_base_20rocsparse_diag_type_
	.p2align	8
	.type	_ZN9rocsparseL27csrsv_analysis_upper_kernelILj1024ELj64ELb0EiiEEvT3_PKT2_PKS1_PS2_PiS7_PS1_21rocsparse_index_base_20rocsparse_diag_type_,@function
_ZN9rocsparseL27csrsv_analysis_upper_kernelILj1024ELj64ELb0EiiEEvT3_PKT2_PKS1_PS2_PiS7_PS1_21rocsparse_index_base_20rocsparse_diag_type_: ; @_ZN9rocsparseL27csrsv_analysis_upper_kernelILj1024ELj64ELb0EiiEEvT3_PKT2_PKS1_PS2_PiS7_PS1_21rocsparse_index_base_20rocsparse_diag_type_
; %bb.0:
	s_load_b32 s2, s[0:1], 0x0
	s_lshl_b32 s3, s15, 4
	v_lshrrev_b32_e32 v2, 6, v0
	s_not_b32 s12, s3
	s_delay_alu instid0(VALU_DEP_1)
	v_lshlrev_b32_e32 v8, 2, v2
	s_waitcnt lgkmcnt(0)
	s_add_i32 s12, s12, s2
	s_mov_b32 s2, exec_lo
	v_sub_nc_u32_e32 v1, s12, v2
	v_mov_b32_e32 v2, 0
	ds_store_b32 v8, v2
	s_waitcnt lgkmcnt(0)
	s_barrier
	buffer_gl0_inv
	v_cmpx_lt_i32_e32 -1, v1
	s_cbranch_execz .LBB4_32
; %bb.1:
	s_clause 0x1
	s_load_b64 s[2:3], s[0:1], 0x8
	s_load_b128 s[8:11], s[0:1], 0x18
	v_lshlrev_b64 v[2:3], 2, v[1:2]
	v_and_b32_e32 v0, 63, v0
	s_mov_b32 s4, exec_lo
	s_delay_alu instid0(VALU_DEP_1)
	v_cmpx_eq_u32_e32 0, v0
	s_cbranch_execz .LBB4_3
; %bb.2:
	s_waitcnt lgkmcnt(0)
	v_add_co_u32 v4, vcc_lo, s8, v2
	v_add_co_ci_u32_e32 v5, vcc_lo, s9, v3, vcc_lo
	v_mov_b32_e32 v6, -1
	global_store_b32 v[4:5], v6, off
.LBB4_3:
	s_or_b32 exec_lo, exec_lo, s4
	s_waitcnt lgkmcnt(0)
	v_add_co_u32 v4, vcc_lo, s2, v2
	v_add_co_ci_u32_e32 v5, vcc_lo, s3, v3, vcc_lo
	v_mov_b32_e32 v11, 0
	s_mov_b32 s14, -1
	s_mov_b32 s13, exec_lo
	global_load_b64 v[4:5], v[4:5], off
	s_clause 0x1
	s_load_b64 s[2:3], s[0:1], 0x38
	s_load_b128 s[4:7], s[0:1], 0x28
	s_waitcnt vmcnt(0) lgkmcnt(0)
	v_subrev_nc_u32_e32 v9, s2, v5
	v_subrev_nc_u32_e32 v10, s2, v4
	v_mov_b32_e32 v5, -1
	s_delay_alu instid0(VALU_DEP_3) | instskip(NEXT) | instid1(VALU_DEP_1)
	v_xad_u32 v4, v0, -1, v9
	v_cmpx_ge_i32_e64 v4, v10
	s_cbranch_execz .LBB4_13
; %bb.4:
	s_load_b64 s[0:1], s[0:1], 0x10
	v_mov_b32_e32 v11, 0
	s_mov_b32 s14, 0
                                        ; implicit-def: $sgpr15
                                        ; implicit-def: $sgpr17
                                        ; implicit-def: $sgpr16
	s_branch .LBB4_7
.LBB4_5:                                ;   in Loop: Header=BB4_7 Depth=1
	s_or_b32 exec_lo, exec_lo, s19
	v_subrev_nc_u32_e32 v4, 64, v4
	v_max_i32_e32 v11, v12, v11
	s_and_not1_b32 s17, s17, exec_lo
	s_or_b32 s16, s16, exec_lo
	s_delay_alu instid0(VALU_DEP_2) | instskip(SKIP_1) | instid1(SALU_CYCLE_1)
	v_cmp_lt_i32_e32 vcc_lo, v4, v10
	s_and_b32 s19, vcc_lo, exec_lo
	s_or_b32 s17, s17, s19
.LBB4_6:                                ;   in Loop: Header=BB4_7 Depth=1
	s_or_b32 exec_lo, exec_lo, s18
	s_delay_alu instid0(SALU_CYCLE_1) | instskip(NEXT) | instid1(SALU_CYCLE_1)
	s_and_b32 s18, exec_lo, s17
	s_or_b32 s14, s18, s14
	s_and_not1_b32 s15, s15, exec_lo
	s_and_b32 s18, s16, exec_lo
	s_delay_alu instid0(SALU_CYCLE_1)
	s_or_b32 s15, s15, s18
	s_and_not1_b32 exec_lo, exec_lo, s14
	s_cbranch_execz .LBB4_12
.LBB4_7:                                ; =>This Loop Header: Depth=1
                                        ;     Child Loop BB4_10 Depth 2
	v_ashrrev_i32_e32 v5, 31, v4
	s_and_not1_b32 s16, s16, exec_lo
	s_or_b32 s17, s17, exec_lo
	s_mov_b32 s18, exec_lo
	s_delay_alu instid0(VALU_DEP_1) | instskip(SKIP_1) | instid1(VALU_DEP_1)
	v_lshlrev_b64 v[5:6], 2, v[4:5]
	s_waitcnt lgkmcnt(0)
	v_add_co_u32 v5, vcc_lo, s0, v5
	s_delay_alu instid0(VALU_DEP_2) | instskip(SKIP_3) | instid1(VALU_DEP_1)
	v_add_co_ci_u32_e32 v6, vcc_lo, s1, v6, vcc_lo
	global_load_b32 v5, v[5:6], off slc dlc
	s_waitcnt vmcnt(0)
	v_subrev_nc_u32_e32 v5, s2, v5
	v_cmpx_lt_i32_e64 s12, v5
	s_cbranch_execz .LBB4_6
; %bb.8:                                ;   in Loop: Header=BB4_7 Depth=1
	v_ashrrev_i32_e32 v6, 31, v5
	s_mov_b32 s19, exec_lo
	s_delay_alu instid0(VALU_DEP_1) | instskip(NEXT) | instid1(VALU_DEP_1)
	v_lshlrev_b64 v[6:7], 2, v[5:6]
	v_add_co_u32 v6, vcc_lo, s10, v6
	s_delay_alu instid0(VALU_DEP_2)
	v_add_co_ci_u32_e32 v7, vcc_lo, s11, v7, vcc_lo
	global_load_b32 v12, v[6:7], off glc
	s_waitcnt vmcnt(0)
	v_cmpx_eq_u32_e32 0, v12
	s_cbranch_execz .LBB4_5
; %bb.9:                                ;   in Loop: Header=BB4_7 Depth=1
	s_mov_b32 s20, 0
.LBB4_10:                               ;   Parent Loop BB4_7 Depth=1
                                        ; =>  This Inner Loop Header: Depth=2
	global_load_b32 v12, v[6:7], off glc
	s_waitcnt vmcnt(0)
	v_cmp_ne_u32_e32 vcc_lo, 0, v12
	s_or_b32 s20, vcc_lo, s20
	s_delay_alu instid0(SALU_CYCLE_1)
	s_and_not1_b32 exec_lo, exec_lo, s20
	s_cbranch_execnz .LBB4_10
; %bb.11:                               ;   in Loop: Header=BB4_7 Depth=1
	s_or_b32 exec_lo, exec_lo, s20
	s_branch .LBB4_5
.LBB4_12:
	s_or_b32 exec_lo, exec_lo, s14
	s_delay_alu instid0(SALU_CYCLE_1)
	s_or_not1_b32 s14, s15, exec_lo
.LBB4_13:
	s_or_b32 exec_lo, exec_lo, s13
	s_xor_b32 s1, s14, -1
	s_delay_alu instid0(SALU_CYCLE_1)
	s_and_saveexec_b32 s0, s1
	s_cbranch_execz .LBB4_22
; %bb.14:
	s_mov_b32 s1, exec_lo
	v_cmpx_eq_u32_e64 v5, v1
	s_cbranch_execz .LBB4_16
; %bb.15:
	v_add_co_u32 v6, vcc_lo, s8, v2
	v_add_co_ci_u32_e32 v7, vcc_lo, s9, v3, vcc_lo
	global_store_b32 v[6:7], v4, off
.LBB4_16:
	s_or_b32 exec_lo, exec_lo, s1
	s_delay_alu instid0(SALU_CYCLE_1)
	s_mov_b32 s1, exec_lo
	v_cmpx_gt_i32_e64 v5, v1
	s_cbranch_execz .LBB4_21
; %bb.17:
	v_sub_nc_u32_e32 v4, s12, v5
	s_mov_b32 s13, 0
	s_mov_b32 s12, exec_lo
	s_delay_alu instid0(VALU_DEP_1)
	v_lshlrev_b32_e32 v5, 2, v4
	ds_load_b32 v4, v5
	s_waitcnt lgkmcnt(0)
	v_cmpx_eq_u32_e32 0, v4
	s_cbranch_execz .LBB4_20
.LBB4_18:                               ; =>This Inner Loop Header: Depth=1
	ds_load_b32 v4, v5
	s_waitcnt lgkmcnt(0)
	v_cmp_ne_u32_e32 vcc_lo, 0, v4
	s_or_b32 s13, vcc_lo, s13
	s_delay_alu instid0(SALU_CYCLE_1)
	s_and_not1_b32 exec_lo, exec_lo, s13
	s_cbranch_execnz .LBB4_18
; %bb.19:
	s_or_b32 exec_lo, exec_lo, s13
.LBB4_20:
	s_delay_alu instid0(SALU_CYCLE_1)
	s_or_b32 exec_lo, exec_lo, s12
	v_max_i32_e32 v11, v4, v11
.LBB4_21:
	s_or_b32 exec_lo, exec_lo, s1
.LBB4_22:
	s_delay_alu instid0(SALU_CYCLE_1)
	s_or_b32 exec_lo, exec_lo, s0
	v_mbcnt_lo_u32_b32 v4, -1, 0
	s_waitcnt_vscnt null, 0x0
	buffer_gl0_inv
	v_or_b32_e32 v5, 32, v4
	v_xor_b32_e32 v6, 16, v4
	v_xor_b32_e32 v7, 8, v4
	s_delay_alu instid0(VALU_DEP_3) | instskip(SKIP_1) | instid1(VALU_DEP_4)
	v_cmp_gt_i32_e32 vcc_lo, 32, v5
	v_cndmask_b32_e32 v5, v4, v5, vcc_lo
	v_cmp_gt_i32_e32 vcc_lo, 32, v6
	v_cndmask_b32_e32 v6, v4, v6, vcc_lo
	;; [unrolled: 2-line block ×3, first 2 shown]
	s_delay_alu instid0(VALU_DEP_1) | instskip(NEXT) | instid1(VALU_DEP_4)
	v_lshlrev_b32_e32 v7, 2, v7
	v_lshlrev_b32_e32 v6, 2, v6
	v_lshlrev_b32_e32 v5, 2, v5
	ds_bpermute_b32 v5, v5, v11
	s_waitcnt lgkmcnt(0)
	v_max_i32_e32 v5, v11, v5
	ds_bpermute_b32 v6, v6, v5
	s_waitcnt lgkmcnt(0)
	v_max_i32_e32 v5, v5, v6
	ds_bpermute_b32 v6, v7, v5
	v_xor_b32_e32 v7, 4, v4
	s_delay_alu instid0(VALU_DEP_1) | instskip(SKIP_1) | instid1(VALU_DEP_1)
	v_cmp_gt_i32_e32 vcc_lo, 32, v7
	v_cndmask_b32_e32 v7, v4, v7, vcc_lo
	v_lshlrev_b32_e32 v7, 2, v7
	s_waitcnt lgkmcnt(0)
	v_max_i32_e32 v5, v5, v6
	ds_bpermute_b32 v6, v7, v5
	v_xor_b32_e32 v7, 2, v4
	s_delay_alu instid0(VALU_DEP_1) | instskip(SKIP_1) | instid1(VALU_DEP_1)
	v_cmp_gt_i32_e32 vcc_lo, 32, v7
	v_cndmask_b32_e32 v7, v4, v7, vcc_lo
	v_lshlrev_b32_e32 v7, 2, v7
	s_waitcnt lgkmcnt(0)
	v_max_i32_e32 v5, v5, v6
	ds_bpermute_b32 v6, v7, v5
	v_xor_b32_e32 v7, 1, v4
	s_delay_alu instid0(VALU_DEP_1) | instskip(SKIP_4) | instid1(VALU_DEP_3)
	v_cmp_gt_i32_e32 vcc_lo, 32, v7
	v_cndmask_b32_e32 v7, v4, v7, vcc_lo
	v_cmp_eq_u32_e32 vcc_lo, 63, v0
	s_waitcnt lgkmcnt(0)
	v_max_i32_e32 v4, v5, v6
	v_lshlrev_b32_e32 v5, 2, v7
	ds_bpermute_b32 v5, v5, v4
	s_and_b32 exec_lo, exec_lo, vcc_lo
	s_cbranch_execz .LBB4_32
; %bb.23:
	s_waitcnt lgkmcnt(0)
	v_max_i32_e32 v0, v4, v5
	v_add_co_u32 v4, vcc_lo, s10, v2
	v_add_co_ci_u32_e32 v5, vcc_lo, s11, v3, vcc_lo
	s_delay_alu instid0(VALU_DEP_3)
	v_add_nc_u32_e32 v6, 1, v0
	v_sub_nc_u32_e32 v0, v9, v10
	s_mov_b32 s1, exec_lo
	s_brev_b32 s0, 1
	ds_store_b32 v8, v6
	global_store_b32 v[4:5], v6, off
.LBB4_24:                               ; =>This Inner Loop Header: Depth=1
	s_ctz_i32_b32 s10, s1
	s_delay_alu instid0(SALU_CYCLE_1) | instskip(SKIP_1) | instid1(SALU_CYCLE_1)
	v_readlane_b32 s11, v0, s10
	s_lshl_b32 s10, 1, s10
	s_and_not1_b32 s1, s1, s10
	s_delay_alu instid0(VALU_DEP_1)
	s_max_i32 s0, s0, s11
	s_cmp_lg_u32 s1, 0
	s_cbranch_scc1 .LBB4_24
; %bb.25:
	v_mbcnt_lo_u32_b32 v0, exec_lo, 0
	s_mov_b32 s1, exec_lo
	s_delay_alu instid0(VALU_DEP_1)
	v_cmpx_eq_u32_e32 0, v0
	s_xor_b32 s1, exec_lo, s1
	s_cbranch_execz .LBB4_27
; %bb.26:
	v_mov_b32_e32 v0, 0
	v_mov_b32_e32 v4, s0
	global_atomic_max_i32 v0, v4, s[4:5]
.LBB4_27:
	s_or_b32 exec_lo, exec_lo, s1
	v_add_co_u32 v2, vcc_lo, s8, v2
	v_add_co_ci_u32_e32 v3, vcc_lo, s9, v3, vcc_lo
	s_cmp_eq_u32 s3, 0
	s_cselect_b32 s0, -1, 0
	global_load_b32 v0, v[2:3], off
	s_waitcnt vmcnt(0)
	v_cmp_eq_u32_e32 vcc_lo, -1, v0
	s_and_b32 s0, s0, vcc_lo
	s_delay_alu instid0(SALU_CYCLE_1)
	s_and_b32 exec_lo, exec_lo, s0
	s_cbranch_execz .LBB4_32
; %bb.28:
	v_add_nc_u32_e32 v0, s2, v1
	s_mov_b32 s1, exec_lo
	s_brev_b32 s0, -2
.LBB4_29:                               ; =>This Inner Loop Header: Depth=1
	s_ctz_i32_b32 s2, s1
	s_delay_alu instid0(VALU_DEP_1) | instid1(SALU_CYCLE_1)
	v_readlane_b32 s3, v0, s2
	s_lshl_b32 s2, 1, s2
	s_delay_alu instid0(SALU_CYCLE_1) | instskip(NEXT) | instid1(VALU_DEP_1)
	s_and_not1_b32 s1, s1, s2
	s_min_i32 s0, s0, s3
	s_cmp_lg_u32 s1, 0
	s_cbranch_scc1 .LBB4_29
; %bb.30:
	v_mbcnt_lo_u32_b32 v0, exec_lo, 0
	s_mov_b32 s1, exec_lo
	s_delay_alu instid0(VALU_DEP_1)
	v_cmpx_eq_u32_e32 0, v0
	s_xor_b32 s1, exec_lo, s1
	s_cbranch_execz .LBB4_32
; %bb.31:
	v_dual_mov_b32 v0, 0 :: v_dual_mov_b32 v1, s0
	global_atomic_min_i32 v0, v1, s[6:7]
.LBB4_32:
	s_nop 0
	s_sendmsg sendmsg(MSG_DEALLOC_VGPRS)
	s_endpgm
	.section	.rodata,"a",@progbits
	.p2align	6, 0x0
	.amdhsa_kernel _ZN9rocsparseL27csrsv_analysis_upper_kernelILj1024ELj64ELb0EiiEEvT3_PKT2_PKS1_PS2_PiS7_PS1_21rocsparse_index_base_20rocsparse_diag_type_
		.amdhsa_group_segment_fixed_size 64
		.amdhsa_private_segment_fixed_size 0
		.amdhsa_kernarg_size 64
		.amdhsa_user_sgpr_count 15
		.amdhsa_user_sgpr_dispatch_ptr 0
		.amdhsa_user_sgpr_queue_ptr 0
		.amdhsa_user_sgpr_kernarg_segment_ptr 1
		.amdhsa_user_sgpr_dispatch_id 0
		.amdhsa_user_sgpr_private_segment_size 0
		.amdhsa_wavefront_size32 1
		.amdhsa_uses_dynamic_stack 0
		.amdhsa_enable_private_segment 0
		.amdhsa_system_sgpr_workgroup_id_x 1
		.amdhsa_system_sgpr_workgroup_id_y 0
		.amdhsa_system_sgpr_workgroup_id_z 0
		.amdhsa_system_sgpr_workgroup_info 0
		.amdhsa_system_vgpr_workitem_id 0
		.amdhsa_next_free_vgpr 13
		.amdhsa_next_free_sgpr 21
		.amdhsa_reserve_vcc 1
		.amdhsa_float_round_mode_32 0
		.amdhsa_float_round_mode_16_64 0
		.amdhsa_float_denorm_mode_32 3
		.amdhsa_float_denorm_mode_16_64 3
		.amdhsa_dx10_clamp 1
		.amdhsa_ieee_mode 1
		.amdhsa_fp16_overflow 0
		.amdhsa_workgroup_processor_mode 1
		.amdhsa_memory_ordered 1
		.amdhsa_forward_progress 0
		.amdhsa_shared_vgpr_count 0
		.amdhsa_exception_fp_ieee_invalid_op 0
		.amdhsa_exception_fp_denorm_src 0
		.amdhsa_exception_fp_ieee_div_zero 0
		.amdhsa_exception_fp_ieee_overflow 0
		.amdhsa_exception_fp_ieee_underflow 0
		.amdhsa_exception_fp_ieee_inexact 0
		.amdhsa_exception_int_div_zero 0
	.end_amdhsa_kernel
	.section	.text._ZN9rocsparseL27csrsv_analysis_upper_kernelILj1024ELj64ELb0EiiEEvT3_PKT2_PKS1_PS2_PiS7_PS1_21rocsparse_index_base_20rocsparse_diag_type_,"axG",@progbits,_ZN9rocsparseL27csrsv_analysis_upper_kernelILj1024ELj64ELb0EiiEEvT3_PKT2_PKS1_PS2_PiS7_PS1_21rocsparse_index_base_20rocsparse_diag_type_,comdat
.Lfunc_end4:
	.size	_ZN9rocsparseL27csrsv_analysis_upper_kernelILj1024ELj64ELb0EiiEEvT3_PKT2_PKS1_PS2_PiS7_PS1_21rocsparse_index_base_20rocsparse_diag_type_, .Lfunc_end4-_ZN9rocsparseL27csrsv_analysis_upper_kernelILj1024ELj64ELb0EiiEEvT3_PKT2_PKS1_PS2_PiS7_PS1_21rocsparse_index_base_20rocsparse_diag_type_
                                        ; -- End function
	.section	.AMDGPU.csdata,"",@progbits
; Kernel info:
; codeLenInByte = 1260
; NumSgprs: 23
; NumVgprs: 13
; ScratchSize: 0
; MemoryBound: 0
; FloatMode: 240
; IeeeMode: 1
; LDSByteSize: 64 bytes/workgroup (compile time only)
; SGPRBlocks: 2
; VGPRBlocks: 1
; NumSGPRsForWavesPerEU: 23
; NumVGPRsForWavesPerEU: 13
; Occupancy: 16
; WaveLimiterHint : 1
; COMPUTE_PGM_RSRC2:SCRATCH_EN: 0
; COMPUTE_PGM_RSRC2:USER_SGPR: 15
; COMPUTE_PGM_RSRC2:TRAP_HANDLER: 0
; COMPUTE_PGM_RSRC2:TGID_X_EN: 1
; COMPUTE_PGM_RSRC2:TGID_Y_EN: 0
; COMPUTE_PGM_RSRC2:TGID_Z_EN: 0
; COMPUTE_PGM_RSRC2:TIDIG_COMP_CNT: 0
	.section	.text._ZN9rocsparseL27csrsv_analysis_lower_kernelILj1024ELj64ELb0EiiEEvT3_PKT2_PKS1_PS2_PiS7_PS1_21rocsparse_index_base_20rocsparse_diag_type_,"axG",@progbits,_ZN9rocsparseL27csrsv_analysis_lower_kernelILj1024ELj64ELb0EiiEEvT3_PKT2_PKS1_PS2_PiS7_PS1_21rocsparse_index_base_20rocsparse_diag_type_,comdat
	.globl	_ZN9rocsparseL27csrsv_analysis_lower_kernelILj1024ELj64ELb0EiiEEvT3_PKT2_PKS1_PS2_PiS7_PS1_21rocsparse_index_base_20rocsparse_diag_type_ ; -- Begin function _ZN9rocsparseL27csrsv_analysis_lower_kernelILj1024ELj64ELb0EiiEEvT3_PKT2_PKS1_PS2_PiS7_PS1_21rocsparse_index_base_20rocsparse_diag_type_
	.p2align	8
	.type	_ZN9rocsparseL27csrsv_analysis_lower_kernelILj1024ELj64ELb0EiiEEvT3_PKT2_PKS1_PS2_PiS7_PS1_21rocsparse_index_base_20rocsparse_diag_type_,@function
_ZN9rocsparseL27csrsv_analysis_lower_kernelILj1024ELj64ELb0EiiEEvT3_PKT2_PKS1_PS2_PiS7_PS1_21rocsparse_index_base_20rocsparse_diag_type_: ; @_ZN9rocsparseL27csrsv_analysis_lower_kernelILj1024ELj64ELb0EiiEEvT3_PKT2_PKS1_PS2_PiS7_PS1_21rocsparse_index_base_20rocsparse_diag_type_
; %bb.0:
	s_load_b32 s2, s[0:1], 0x0
	v_lshrrev_b32_e32 v2, 6, v0
	s_lshl_b32 s12, s15, 4
	s_delay_alu instid0(VALU_DEP_1) | instid1(SALU_CYCLE_1)
	v_or_b32_e32 v1, s12, v2
	v_lshlrev_b32_e32 v8, 2, v2
	v_mov_b32_e32 v2, 0
	ds_store_b32 v8, v2
	s_waitcnt lgkmcnt(0)
	s_barrier
	buffer_gl0_inv
	v_cmp_gt_i32_e32 vcc_lo, s2, v1
	s_and_saveexec_b32 s2, vcc_lo
	s_cbranch_execz .LBB5_32
; %bb.1:
	s_clause 0x1
	s_load_b64 s[2:3], s[0:1], 0x8
	s_load_b128 s[8:11], s[0:1], 0x18
	v_ashrrev_i32_e32 v2, 31, v1
	v_and_b32_e32 v0, 63, v0
	s_mov_b32 s14, 0
	s_mov_b32 s4, exec_lo
	s_delay_alu instid0(VALU_DEP_2) | instskip(NEXT) | instid1(VALU_DEP_2)
	v_lshlrev_b64 v[2:3], 2, v[1:2]
	v_cmpx_eq_u32_e32 0, v0
	s_cbranch_execz .LBB5_3
; %bb.2:
	s_waitcnt lgkmcnt(0)
	s_delay_alu instid0(VALU_DEP_2) | instskip(NEXT) | instid1(VALU_DEP_3)
	v_add_co_u32 v4, vcc_lo, s8, v2
	v_add_co_ci_u32_e32 v5, vcc_lo, s9, v3, vcc_lo
	v_mov_b32_e32 v6, -1
	global_store_b32 v[4:5], v6, off
.LBB5_3:
	s_or_b32 exec_lo, exec_lo, s4
	s_waitcnt lgkmcnt(0)
	s_delay_alu instid0(VALU_DEP_2)
	v_add_co_u32 v4, vcc_lo, s2, v2
	v_add_co_ci_u32_e32 v5, vcc_lo, s3, v3, vcc_lo
	v_mov_b32_e32 v11, 0
	s_mov_b32 s13, exec_lo
	global_load_b64 v[4:5], v[4:5], off
	s_clause 0x1
	s_load_b64 s[2:3], s[0:1], 0x38
	s_load_b128 s[4:7], s[0:1], 0x28
	s_waitcnt vmcnt(0) lgkmcnt(0)
	v_subrev_nc_u32_e32 v9, s2, v4
	v_subrev_nc_u32_e32 v10, s2, v5
	s_delay_alu instid0(VALU_DEP_2) | instskip(NEXT) | instid1(VALU_DEP_1)
	v_dual_mov_b32 v5, -1 :: v_dual_add_nc_u32 v4, v9, v0
	v_cmpx_lt_i32_e64 v4, v10
	s_cbranch_execz .LBB5_13
; %bb.4:
	s_load_b64 s[0:1], s[0:1], 0x10
	v_mov_b32_e32 v11, 0
                                        ; implicit-def: $sgpr15
                                        ; implicit-def: $sgpr17
                                        ; implicit-def: $sgpr16
	s_branch .LBB5_7
.LBB5_5:                                ;   in Loop: Header=BB5_7 Depth=1
	s_or_b32 exec_lo, exec_lo, s19
	v_add_nc_u32_e32 v4, 64, v4
	v_max_i32_e32 v11, v12, v11
	s_and_not1_b32 s17, s17, exec_lo
	s_and_not1_b32 s16, s16, exec_lo
	s_delay_alu instid0(VALU_DEP_2) | instskip(SKIP_1) | instid1(SALU_CYCLE_1)
	v_cmp_ge_i32_e32 vcc_lo, v4, v10
	s_and_b32 s19, vcc_lo, exec_lo
	s_or_b32 s17, s17, s19
.LBB5_6:                                ;   in Loop: Header=BB5_7 Depth=1
	s_or_b32 exec_lo, exec_lo, s18
	s_delay_alu instid0(SALU_CYCLE_1) | instskip(NEXT) | instid1(SALU_CYCLE_1)
	s_and_b32 s18, exec_lo, s17
	s_or_b32 s14, s18, s14
	s_and_not1_b32 s15, s15, exec_lo
	s_and_b32 s18, s16, exec_lo
	s_delay_alu instid0(SALU_CYCLE_1)
	s_or_b32 s15, s15, s18
	s_and_not1_b32 exec_lo, exec_lo, s14
	s_cbranch_execz .LBB5_12
.LBB5_7:                                ; =>This Loop Header: Depth=1
                                        ;     Child Loop BB5_10 Depth 2
	v_ashrrev_i32_e32 v5, 31, v4
	s_or_b32 s16, s16, exec_lo
	s_or_b32 s17, s17, exec_lo
	s_mov_b32 s18, exec_lo
	s_delay_alu instid0(VALU_DEP_1) | instskip(SKIP_1) | instid1(VALU_DEP_1)
	v_lshlrev_b64 v[5:6], 2, v[4:5]
	s_waitcnt lgkmcnt(0)
	v_add_co_u32 v5, vcc_lo, s0, v5
	s_delay_alu instid0(VALU_DEP_2) | instskip(SKIP_3) | instid1(VALU_DEP_1)
	v_add_co_ci_u32_e32 v6, vcc_lo, s1, v6, vcc_lo
	global_load_b32 v5, v[5:6], off slc dlc
	s_waitcnt vmcnt(0)
	v_subrev_nc_u32_e32 v5, s2, v5
	v_cmpx_gt_i32_e64 s12, v5
	s_cbranch_execz .LBB5_6
; %bb.8:                                ;   in Loop: Header=BB5_7 Depth=1
	v_ashrrev_i32_e32 v6, 31, v5
	s_mov_b32 s19, exec_lo
	s_delay_alu instid0(VALU_DEP_1) | instskip(NEXT) | instid1(VALU_DEP_1)
	v_lshlrev_b64 v[6:7], 2, v[5:6]
	v_add_co_u32 v6, vcc_lo, s10, v6
	s_delay_alu instid0(VALU_DEP_2)
	v_add_co_ci_u32_e32 v7, vcc_lo, s11, v7, vcc_lo
	global_load_b32 v12, v[6:7], off glc
	s_waitcnt vmcnt(0)
	v_cmpx_eq_u32_e32 0, v12
	s_cbranch_execz .LBB5_5
; %bb.9:                                ;   in Loop: Header=BB5_7 Depth=1
	s_mov_b32 s20, 0
.LBB5_10:                               ;   Parent Loop BB5_7 Depth=1
                                        ; =>  This Inner Loop Header: Depth=2
	global_load_b32 v12, v[6:7], off glc
	s_waitcnt vmcnt(0)
	v_cmp_ne_u32_e32 vcc_lo, 0, v12
	s_or_b32 s20, vcc_lo, s20
	s_delay_alu instid0(SALU_CYCLE_1)
	s_and_not1_b32 exec_lo, exec_lo, s20
	s_cbranch_execnz .LBB5_10
; %bb.11:                               ;   in Loop: Header=BB5_7 Depth=1
	s_or_b32 exec_lo, exec_lo, s20
	s_branch .LBB5_5
.LBB5_12:
	s_or_b32 exec_lo, exec_lo, s14
	s_delay_alu instid0(SALU_CYCLE_1)
	s_and_b32 s14, s15, exec_lo
.LBB5_13:
	s_or_b32 exec_lo, exec_lo, s13
	s_and_saveexec_b32 s0, s14
	s_cbranch_execz .LBB5_22
; %bb.14:
	s_mov_b32 s1, exec_lo
	v_cmpx_eq_u32_e64 v5, v1
	s_cbranch_execz .LBB5_16
; %bb.15:
	v_add_co_u32 v6, vcc_lo, s8, v2
	v_add_co_ci_u32_e32 v7, vcc_lo, s9, v3, vcc_lo
	global_store_b32 v[6:7], v4, off
.LBB5_16:
	s_or_b32 exec_lo, exec_lo, s1
	s_delay_alu instid0(SALU_CYCLE_1)
	s_mov_b32 s1, exec_lo
	v_cmpx_lt_i32_e64 v5, v1
	s_cbranch_execz .LBB5_21
; %bb.17:
	v_subrev_nc_u32_e32 v4, s12, v5
	s_mov_b32 s13, 0
	s_mov_b32 s12, exec_lo
	s_delay_alu instid0(VALU_DEP_1)
	v_lshlrev_b32_e32 v5, 2, v4
	ds_load_b32 v4, v5
	s_waitcnt lgkmcnt(0)
	v_cmpx_eq_u32_e32 0, v4
	s_cbranch_execz .LBB5_20
.LBB5_18:                               ; =>This Inner Loop Header: Depth=1
	ds_load_b32 v4, v5
	s_waitcnt lgkmcnt(0)
	v_cmp_ne_u32_e32 vcc_lo, 0, v4
	s_or_b32 s13, vcc_lo, s13
	s_delay_alu instid0(SALU_CYCLE_1)
	s_and_not1_b32 exec_lo, exec_lo, s13
	s_cbranch_execnz .LBB5_18
; %bb.19:
	s_or_b32 exec_lo, exec_lo, s13
.LBB5_20:
	s_delay_alu instid0(SALU_CYCLE_1)
	s_or_b32 exec_lo, exec_lo, s12
	v_max_i32_e32 v11, v4, v11
.LBB5_21:
	s_or_b32 exec_lo, exec_lo, s1
.LBB5_22:
	s_delay_alu instid0(SALU_CYCLE_1)
	s_or_b32 exec_lo, exec_lo, s0
	v_mbcnt_lo_u32_b32 v4, -1, 0
	s_waitcnt_vscnt null, 0x0
	buffer_gl0_inv
	v_or_b32_e32 v5, 32, v4
	v_xor_b32_e32 v6, 16, v4
	v_xor_b32_e32 v7, 8, v4
	s_delay_alu instid0(VALU_DEP_3) | instskip(SKIP_1) | instid1(VALU_DEP_4)
	v_cmp_gt_i32_e32 vcc_lo, 32, v5
	v_cndmask_b32_e32 v5, v4, v5, vcc_lo
	v_cmp_gt_i32_e32 vcc_lo, 32, v6
	v_cndmask_b32_e32 v6, v4, v6, vcc_lo
	;; [unrolled: 2-line block ×3, first 2 shown]
	s_delay_alu instid0(VALU_DEP_1) | instskip(NEXT) | instid1(VALU_DEP_4)
	v_lshlrev_b32_e32 v7, 2, v7
	v_lshlrev_b32_e32 v6, 2, v6
	;; [unrolled: 1-line block ×3, first 2 shown]
	ds_bpermute_b32 v5, v5, v11
	s_waitcnt lgkmcnt(0)
	v_max_i32_e32 v5, v11, v5
	ds_bpermute_b32 v6, v6, v5
	s_waitcnt lgkmcnt(0)
	v_max_i32_e32 v5, v5, v6
	ds_bpermute_b32 v6, v7, v5
	v_xor_b32_e32 v7, 4, v4
	s_delay_alu instid0(VALU_DEP_1) | instskip(SKIP_1) | instid1(VALU_DEP_1)
	v_cmp_gt_i32_e32 vcc_lo, 32, v7
	v_cndmask_b32_e32 v7, v4, v7, vcc_lo
	v_lshlrev_b32_e32 v7, 2, v7
	s_waitcnt lgkmcnt(0)
	v_max_i32_e32 v5, v5, v6
	ds_bpermute_b32 v6, v7, v5
	v_xor_b32_e32 v7, 2, v4
	s_delay_alu instid0(VALU_DEP_1) | instskip(SKIP_1) | instid1(VALU_DEP_1)
	v_cmp_gt_i32_e32 vcc_lo, 32, v7
	v_cndmask_b32_e32 v7, v4, v7, vcc_lo
	v_lshlrev_b32_e32 v7, 2, v7
	s_waitcnt lgkmcnt(0)
	v_max_i32_e32 v5, v5, v6
	ds_bpermute_b32 v6, v7, v5
	v_xor_b32_e32 v7, 1, v4
	s_delay_alu instid0(VALU_DEP_1) | instskip(SKIP_4) | instid1(VALU_DEP_3)
	v_cmp_gt_i32_e32 vcc_lo, 32, v7
	v_cndmask_b32_e32 v7, v4, v7, vcc_lo
	v_cmp_eq_u32_e32 vcc_lo, 63, v0
	s_waitcnt lgkmcnt(0)
	v_max_i32_e32 v4, v5, v6
	v_lshlrev_b32_e32 v5, 2, v7
	ds_bpermute_b32 v5, v5, v4
	s_and_b32 exec_lo, exec_lo, vcc_lo
	s_cbranch_execz .LBB5_32
; %bb.23:
	s_waitcnt lgkmcnt(0)
	v_max_i32_e32 v0, v4, v5
	v_add_co_u32 v4, vcc_lo, s10, v2
	v_add_co_ci_u32_e32 v5, vcc_lo, s11, v3, vcc_lo
	s_delay_alu instid0(VALU_DEP_3)
	v_add_nc_u32_e32 v6, 1, v0
	v_sub_nc_u32_e32 v0, v10, v9
	s_mov_b32 s1, exec_lo
	s_brev_b32 s0, 1
	ds_store_b32 v8, v6
	global_store_b32 v[4:5], v6, off
.LBB5_24:                               ; =>This Inner Loop Header: Depth=1
	s_ctz_i32_b32 s10, s1
	s_delay_alu instid0(SALU_CYCLE_1) | instskip(SKIP_1) | instid1(SALU_CYCLE_1)
	v_readlane_b32 s11, v0, s10
	s_lshl_b32 s10, 1, s10
	s_and_not1_b32 s1, s1, s10
	s_delay_alu instid0(VALU_DEP_1)
	s_max_i32 s0, s0, s11
	s_cmp_lg_u32 s1, 0
	s_cbranch_scc1 .LBB5_24
; %bb.25:
	v_mbcnt_lo_u32_b32 v0, exec_lo, 0
	s_mov_b32 s1, exec_lo
	s_delay_alu instid0(VALU_DEP_1)
	v_cmpx_eq_u32_e32 0, v0
	s_xor_b32 s1, exec_lo, s1
	s_cbranch_execz .LBB5_27
; %bb.26:
	v_mov_b32_e32 v0, 0
	v_mov_b32_e32 v4, s0
	global_atomic_max_i32 v0, v4, s[4:5]
.LBB5_27:
	s_or_b32 exec_lo, exec_lo, s1
	v_add_co_u32 v2, vcc_lo, s8, v2
	v_add_co_ci_u32_e32 v3, vcc_lo, s9, v3, vcc_lo
	s_cmp_eq_u32 s3, 0
	s_cselect_b32 s0, -1, 0
	global_load_b32 v0, v[2:3], off
	s_waitcnt vmcnt(0)
	v_cmp_eq_u32_e32 vcc_lo, -1, v0
	s_and_b32 s0, s0, vcc_lo
	s_delay_alu instid0(SALU_CYCLE_1)
	s_and_b32 exec_lo, exec_lo, s0
	s_cbranch_execz .LBB5_32
; %bb.28:
	v_add_nc_u32_e32 v0, s2, v1
	s_mov_b32 s1, exec_lo
	s_brev_b32 s0, -2
.LBB5_29:                               ; =>This Inner Loop Header: Depth=1
	s_ctz_i32_b32 s2, s1
	s_delay_alu instid0(VALU_DEP_1) | instid1(SALU_CYCLE_1)
	v_readlane_b32 s3, v0, s2
	s_lshl_b32 s2, 1, s2
	s_delay_alu instid0(SALU_CYCLE_1) | instskip(NEXT) | instid1(VALU_DEP_1)
	s_and_not1_b32 s1, s1, s2
	s_min_i32 s0, s0, s3
	s_cmp_lg_u32 s1, 0
	s_cbranch_scc1 .LBB5_29
; %bb.30:
	v_mbcnt_lo_u32_b32 v0, exec_lo, 0
	s_mov_b32 s1, exec_lo
	s_delay_alu instid0(VALU_DEP_1)
	v_cmpx_eq_u32_e32 0, v0
	s_xor_b32 s1, exec_lo, s1
	s_cbranch_execz .LBB5_32
; %bb.31:
	v_dual_mov_b32 v0, 0 :: v_dual_mov_b32 v1, s0
	global_atomic_min_i32 v0, v1, s[6:7]
.LBB5_32:
	s_nop 0
	s_sendmsg sendmsg(MSG_DEALLOC_VGPRS)
	s_endpgm
	.section	.rodata,"a",@progbits
	.p2align	6, 0x0
	.amdhsa_kernel _ZN9rocsparseL27csrsv_analysis_lower_kernelILj1024ELj64ELb0EiiEEvT3_PKT2_PKS1_PS2_PiS7_PS1_21rocsparse_index_base_20rocsparse_diag_type_
		.amdhsa_group_segment_fixed_size 64
		.amdhsa_private_segment_fixed_size 0
		.amdhsa_kernarg_size 64
		.amdhsa_user_sgpr_count 15
		.amdhsa_user_sgpr_dispatch_ptr 0
		.amdhsa_user_sgpr_queue_ptr 0
		.amdhsa_user_sgpr_kernarg_segment_ptr 1
		.amdhsa_user_sgpr_dispatch_id 0
		.amdhsa_user_sgpr_private_segment_size 0
		.amdhsa_wavefront_size32 1
		.amdhsa_uses_dynamic_stack 0
		.amdhsa_enable_private_segment 0
		.amdhsa_system_sgpr_workgroup_id_x 1
		.amdhsa_system_sgpr_workgroup_id_y 0
		.amdhsa_system_sgpr_workgroup_id_z 0
		.amdhsa_system_sgpr_workgroup_info 0
		.amdhsa_system_vgpr_workitem_id 0
		.amdhsa_next_free_vgpr 13
		.amdhsa_next_free_sgpr 21
		.amdhsa_reserve_vcc 1
		.amdhsa_float_round_mode_32 0
		.amdhsa_float_round_mode_16_64 0
		.amdhsa_float_denorm_mode_32 3
		.amdhsa_float_denorm_mode_16_64 3
		.amdhsa_dx10_clamp 1
		.amdhsa_ieee_mode 1
		.amdhsa_fp16_overflow 0
		.amdhsa_workgroup_processor_mode 1
		.amdhsa_memory_ordered 1
		.amdhsa_forward_progress 0
		.amdhsa_shared_vgpr_count 0
		.amdhsa_exception_fp_ieee_invalid_op 0
		.amdhsa_exception_fp_denorm_src 0
		.amdhsa_exception_fp_ieee_div_zero 0
		.amdhsa_exception_fp_ieee_overflow 0
		.amdhsa_exception_fp_ieee_underflow 0
		.amdhsa_exception_fp_ieee_inexact 0
		.amdhsa_exception_int_div_zero 0
	.end_amdhsa_kernel
	.section	.text._ZN9rocsparseL27csrsv_analysis_lower_kernelILj1024ELj64ELb0EiiEEvT3_PKT2_PKS1_PS2_PiS7_PS1_21rocsparse_index_base_20rocsparse_diag_type_,"axG",@progbits,_ZN9rocsparseL27csrsv_analysis_lower_kernelILj1024ELj64ELb0EiiEEvT3_PKT2_PKS1_PS2_PiS7_PS1_21rocsparse_index_base_20rocsparse_diag_type_,comdat
.Lfunc_end5:
	.size	_ZN9rocsparseL27csrsv_analysis_lower_kernelILj1024ELj64ELb0EiiEEvT3_PKT2_PKS1_PS2_PiS7_PS1_21rocsparse_index_base_20rocsparse_diag_type_, .Lfunc_end5-_ZN9rocsparseL27csrsv_analysis_lower_kernelILj1024ELj64ELb0EiiEEvT3_PKT2_PKS1_PS2_PiS7_PS1_21rocsparse_index_base_20rocsparse_diag_type_
                                        ; -- End function
	.section	.AMDGPU.csdata,"",@progbits
; Kernel info:
; codeLenInByte = 1244
; NumSgprs: 23
; NumVgprs: 13
; ScratchSize: 0
; MemoryBound: 0
; FloatMode: 240
; IeeeMode: 1
; LDSByteSize: 64 bytes/workgroup (compile time only)
; SGPRBlocks: 2
; VGPRBlocks: 1
; NumSGPRsForWavesPerEU: 23
; NumVGPRsForWavesPerEU: 13
; Occupancy: 16
; WaveLimiterHint : 1
; COMPUTE_PGM_RSRC2:SCRATCH_EN: 0
; COMPUTE_PGM_RSRC2:USER_SGPR: 15
; COMPUTE_PGM_RSRC2:TRAP_HANDLER: 0
; COMPUTE_PGM_RSRC2:TGID_X_EN: 1
; COMPUTE_PGM_RSRC2:TGID_Y_EN: 0
; COMPUTE_PGM_RSRC2:TGID_Z_EN: 0
; COMPUTE_PGM_RSRC2:TIDIG_COMP_CNT: 0
	.section	.text._ZN9rocsparseL27csrsv_analysis_upper_kernelILj1024ELj64ELb1EliEEvT3_PKT2_PKS1_PS2_PiS7_PS1_21rocsparse_index_base_20rocsparse_diag_type_,"axG",@progbits,_ZN9rocsparseL27csrsv_analysis_upper_kernelILj1024ELj64ELb1EliEEvT3_PKT2_PKS1_PS2_PiS7_PS1_21rocsparse_index_base_20rocsparse_diag_type_,comdat
	.globl	_ZN9rocsparseL27csrsv_analysis_upper_kernelILj1024ELj64ELb1EliEEvT3_PKT2_PKS1_PS2_PiS7_PS1_21rocsparse_index_base_20rocsparse_diag_type_ ; -- Begin function _ZN9rocsparseL27csrsv_analysis_upper_kernelILj1024ELj64ELb1EliEEvT3_PKT2_PKS1_PS2_PiS7_PS1_21rocsparse_index_base_20rocsparse_diag_type_
	.p2align	8
	.type	_ZN9rocsparseL27csrsv_analysis_upper_kernelILj1024ELj64ELb1EliEEvT3_PKT2_PKS1_PS2_PiS7_PS1_21rocsparse_index_base_20rocsparse_diag_type_,@function
_ZN9rocsparseL27csrsv_analysis_upper_kernelILj1024ELj64ELb1EliEEvT3_PKT2_PKS1_PS2_PiS7_PS1_21rocsparse_index_base_20rocsparse_diag_type_: ; @_ZN9rocsparseL27csrsv_analysis_upper_kernelILj1024ELj64ELb1EliEEvT3_PKT2_PKS1_PS2_PiS7_PS1_21rocsparse_index_base_20rocsparse_diag_type_
; %bb.0:
	s_load_b32 s2, s[0:1], 0x0
	s_lshl_b32 s3, s15, 4
	v_lshrrev_b32_e32 v2, 6, v0
	s_not_b32 s12, s3
	s_delay_alu instid0(VALU_DEP_1)
	v_lshlrev_b32_e32 v12, 2, v2
	s_waitcnt lgkmcnt(0)
	s_add_i32 s12, s12, s2
	s_mov_b32 s2, exec_lo
	v_sub_nc_u32_e32 v1, s12, v2
	v_mov_b32_e32 v2, 0
	ds_store_b32 v12, v2
	s_waitcnt lgkmcnt(0)
	s_barrier
	buffer_gl0_inv
	v_cmpx_lt_i32_e32 -1, v1
	s_cbranch_execz .LBB6_37
; %bb.1:
	s_clause 0x1
	s_load_b64 s[2:3], s[0:1], 0x8
	s_load_b128 s[8:11], s[0:1], 0x18
	v_lshlrev_b64 v[3:4], 3, v[1:2]
	v_and_b32_e32 v0, 63, v0
	s_mov_b32 s4, exec_lo
	s_delay_alu instid0(VALU_DEP_1)
	v_cmpx_eq_u32_e32 0, v0
	s_cbranch_execz .LBB6_3
; %bb.2:
	v_mov_b32_e32 v5, -1
	s_waitcnt lgkmcnt(0)
	v_add_co_u32 v7, vcc_lo, s8, v3
	v_add_co_ci_u32_e32 v8, vcc_lo, s9, v4, vcc_lo
	s_delay_alu instid0(VALU_DEP_3)
	v_mov_b32_e32 v6, v5
	global_store_b64 v[7:8], v[5:6], off
.LBB6_3:
	s_or_b32 exec_lo, exec_lo, s4
	s_waitcnt lgkmcnt(0)
	v_add_co_u32 v5, vcc_lo, s2, v3
	v_add_co_ci_u32_e32 v6, vcc_lo, s3, v4, vcc_lo
	s_clause 0x1
	s_load_b64 s[2:3], s[0:1], 0x38
	s_load_b128 s[4:7], s[0:1], 0x28
	v_not_b32_e32 v9, v0
	global_load_b128 v[5:8], v[5:6], off
	v_mov_b32_e32 v15, 0
	s_mov_b32 s14, -1
	s_mov_b32 s13, exec_lo
	v_ashrrev_i32_e32 v10, 31, v9
	s_waitcnt vmcnt(0) lgkmcnt(0)
	v_sub_co_u32 v13, vcc_lo, v7, s2
	v_subrev_co_ci_u32_e32 v14, vcc_lo, 0, v8, vcc_lo
	v_sub_co_u32 v5, vcc_lo, v5, s2
	v_subrev_co_ci_u32_e32 v6, vcc_lo, 0, v6, vcc_lo
	s_delay_alu instid0(VALU_DEP_4) | instskip(NEXT) | instid1(VALU_DEP_4)
	v_add_co_u32 v7, vcc_lo, v13, v9
	v_add_co_ci_u32_e32 v8, vcc_lo, v14, v10, vcc_lo
	v_mov_b32_e32 v9, -1
	s_delay_alu instid0(VALU_DEP_2)
	v_cmpx_ge_i64_e64 v[7:8], v[5:6]
	s_cbranch_execz .LBB6_15
; %bb.4:
	s_load_b64 s[0:1], s[0:1], 0x10
	v_mov_b32_e32 v15, 0
	s_mov_b32 s14, 0
                                        ; implicit-def: $sgpr15
                                        ; implicit-def: $sgpr17
                                        ; implicit-def: $sgpr16
	s_branch .LBB6_8
.LBB6_5:                                ;   in Loop: Header=BB6_8 Depth=1
	s_or_b32 exec_lo, exec_lo, s20
.LBB6_6:                                ;   in Loop: Header=BB6_8 Depth=1
	s_delay_alu instid0(SALU_CYCLE_1)
	s_or_b32 exec_lo, exec_lo, s19
	v_add_co_u32 v7, vcc_lo, 0xffffffc0, v7
	v_add_co_ci_u32_e32 v8, vcc_lo, -1, v8, vcc_lo
	v_max_i32_e32 v15, v16, v15
	s_and_not1_b32 s17, s17, exec_lo
	s_or_b32 s16, s16, exec_lo
	s_delay_alu instid0(VALU_DEP_2) | instskip(SKIP_1) | instid1(SALU_CYCLE_1)
	v_cmp_lt_i64_e32 vcc_lo, v[7:8], v[5:6]
	s_and_b32 s19, vcc_lo, exec_lo
	s_or_b32 s17, s17, s19
.LBB6_7:                                ;   in Loop: Header=BB6_8 Depth=1
	s_or_b32 exec_lo, exec_lo, s18
	s_delay_alu instid0(SALU_CYCLE_1) | instskip(NEXT) | instid1(SALU_CYCLE_1)
	s_and_b32 s18, exec_lo, s17
	s_or_b32 s14, s18, s14
	s_and_not1_b32 s15, s15, exec_lo
	s_and_b32 s18, s16, exec_lo
	s_delay_alu instid0(SALU_CYCLE_1)
	s_or_b32 s15, s15, s18
	s_and_not1_b32 exec_lo, exec_lo, s14
	s_cbranch_execz .LBB6_14
.LBB6_8:                                ; =>This Loop Header: Depth=1
                                        ;     Child Loop BB6_12 Depth 2
                                        ;       Child Loop BB6_13 Depth 3
	v_lshlrev_b64 v[9:10], 2, v[7:8]
	s_and_not1_b32 s16, s16, exec_lo
	s_or_b32 s17, s17, exec_lo
	s_mov_b32 s18, exec_lo
	s_waitcnt lgkmcnt(0)
	s_delay_alu instid0(VALU_DEP_1) | instskip(SKIP_4) | instid1(VALU_DEP_1)
	v_add_co_u32 v9, vcc_lo, s0, v9
	v_add_co_ci_u32_e32 v10, vcc_lo, s1, v10, vcc_lo
	global_load_b32 v9, v[9:10], off slc dlc
	s_waitcnt vmcnt(0)
	v_subrev_nc_u32_e32 v9, s2, v9
	v_cmpx_lt_i32_e64 s12, v9
	s_cbranch_execz .LBB6_7
; %bb.9:                                ;   in Loop: Header=BB6_8 Depth=1
	v_ashrrev_i32_e32 v10, 31, v9
	s_mov_b32 s19, exec_lo
	s_delay_alu instid0(VALU_DEP_1) | instskip(NEXT) | instid1(VALU_DEP_1)
	v_lshlrev_b64 v[10:11], 2, v[9:10]
	v_add_co_u32 v10, vcc_lo, s10, v10
	s_delay_alu instid0(VALU_DEP_2)
	v_add_co_ci_u32_e32 v11, vcc_lo, s11, v11, vcc_lo
	global_load_b32 v16, v[10:11], off glc
	s_waitcnt vmcnt(0)
	v_cmpx_eq_u32_e32 0, v16
	s_cbranch_execz .LBB6_6
; %bb.10:                               ;   in Loop: Header=BB6_8 Depth=1
	s_mov_b32 s20, 0
	s_mov_b32 s21, 0
	s_branch .LBB6_12
	.p2align	6
.LBB6_11:                               ;   in Loop: Header=BB6_12 Depth=2
	global_load_b32 v16, v[10:11], off glc
	s_cmpk_lt_u32 s21, 0xf43
	s_cselect_b32 s22, -1, 0
	s_delay_alu instid0(SALU_CYCLE_1) | instskip(SKIP_4) | instid1(SALU_CYCLE_1)
	s_cmp_lg_u32 s22, 0
	s_addc_u32 s21, s21, 0
	s_waitcnt vmcnt(0)
	v_cmp_ne_u32_e32 vcc_lo, 0, v16
	s_or_b32 s20, vcc_lo, s20
	s_and_not1_b32 exec_lo, exec_lo, s20
	s_cbranch_execz .LBB6_5
.LBB6_12:                               ;   Parent Loop BB6_8 Depth=1
                                        ; =>  This Loop Header: Depth=2
                                        ;       Child Loop BB6_13 Depth 3
	s_cmp_eq_u32 s21, 0
	s_mov_b32 s22, s21
	s_cbranch_scc1 .LBB6_11
.LBB6_13:                               ;   Parent Loop BB6_8 Depth=1
                                        ;     Parent Loop BB6_12 Depth=2
                                        ; =>    This Inner Loop Header: Depth=3
	s_add_i32 s22, s22, -1
	s_sleep 1
	s_cmp_eq_u32 s22, 0
	s_cbranch_scc0 .LBB6_13
	s_branch .LBB6_11
.LBB6_14:
	s_or_b32 exec_lo, exec_lo, s14
	s_delay_alu instid0(SALU_CYCLE_1)
	s_or_not1_b32 s14, s15, exec_lo
.LBB6_15:
	s_or_b32 exec_lo, exec_lo, s13
	s_xor_b32 s1, s14, -1
	s_delay_alu instid0(SALU_CYCLE_1)
	s_and_saveexec_b32 s0, s1
	s_cbranch_execz .LBB6_27
; %bb.16:
	s_mov_b32 s1, exec_lo
	v_cmpx_eq_u32_e64 v9, v1
	s_cbranch_execz .LBB6_18
; %bb.17:
	v_add_co_u32 v10, vcc_lo, s8, v3
	v_add_co_ci_u32_e32 v11, vcc_lo, s9, v4, vcc_lo
	global_store_b64 v[10:11], v[7:8], off
.LBB6_18:
	s_or_b32 exec_lo, exec_lo, s1
	s_delay_alu instid0(SALU_CYCLE_1)
	s_mov_b32 s1, exec_lo
	v_cmpx_gt_i32_e64 v9, v1
	s_cbranch_execz .LBB6_26
; %bb.19:
	v_sub_nc_u32_e32 v7, s12, v9
	s_mov_b32 s13, 0
	s_mov_b32 s12, exec_lo
	s_delay_alu instid0(VALU_DEP_1)
	v_lshlrev_b32_e32 v7, 2, v7
	ds_load_b32 v8, v7
	s_waitcnt lgkmcnt(0)
	v_cmpx_eq_u32_e32 0, v8
	s_cbranch_execz .LBB6_25
; %bb.20:
	s_mov_b32 s14, 0
	s_branch .LBB6_22
	.p2align	6
.LBB6_21:                               ;   in Loop: Header=BB6_22 Depth=1
	ds_load_b32 v8, v7
	s_cmpk_lt_u32 s14, 0xf43
	s_cselect_b32 s15, -1, 0
	s_delay_alu instid0(SALU_CYCLE_1) | instskip(SKIP_4) | instid1(SALU_CYCLE_1)
	s_cmp_lg_u32 s15, 0
	s_addc_u32 s14, s14, 0
	s_waitcnt lgkmcnt(0)
	v_cmp_ne_u32_e32 vcc_lo, 0, v8
	s_or_b32 s13, vcc_lo, s13
	s_and_not1_b32 exec_lo, exec_lo, s13
	s_cbranch_execz .LBB6_24
.LBB6_22:                               ; =>This Loop Header: Depth=1
                                        ;     Child Loop BB6_23 Depth 2
	s_cmp_eq_u32 s14, 0
	s_mov_b32 s15, s14
	s_cbranch_scc1 .LBB6_21
.LBB6_23:                               ;   Parent Loop BB6_22 Depth=1
                                        ; =>  This Inner Loop Header: Depth=2
	s_add_i32 s15, s15, -1
	s_sleep 1
	s_cmp_eq_u32 s15, 0
	s_cbranch_scc0 .LBB6_23
	s_branch .LBB6_21
.LBB6_24:
	s_or_b32 exec_lo, exec_lo, s13
.LBB6_25:
	s_delay_alu instid0(SALU_CYCLE_1)
	s_or_b32 exec_lo, exec_lo, s12
	v_max_i32_e32 v15, v8, v15
.LBB6_26:
	s_or_b32 exec_lo, exec_lo, s1
.LBB6_27:
	s_delay_alu instid0(SALU_CYCLE_1)
	s_or_b32 exec_lo, exec_lo, s0
	v_mbcnt_lo_u32_b32 v7, -1, 0
	s_waitcnt_vscnt null, 0x0
	buffer_gl0_inv
	v_or_b32_e32 v8, 32, v7
	v_xor_b32_e32 v9, 16, v7
	v_xor_b32_e32 v10, 8, v7
	s_delay_alu instid0(VALU_DEP_3) | instskip(SKIP_1) | instid1(VALU_DEP_4)
	v_cmp_gt_i32_e32 vcc_lo, 32, v8
	v_cndmask_b32_e32 v8, v7, v8, vcc_lo
	v_cmp_gt_i32_e32 vcc_lo, 32, v9
	v_cndmask_b32_e32 v9, v7, v9, vcc_lo
	;; [unrolled: 2-line block ×3, first 2 shown]
	s_delay_alu instid0(VALU_DEP_1) | instskip(NEXT) | instid1(VALU_DEP_4)
	v_lshlrev_b32_e32 v10, 2, v10
	v_lshlrev_b32_e32 v9, 2, v9
	;; [unrolled: 1-line block ×3, first 2 shown]
	ds_bpermute_b32 v8, v8, v15
	s_waitcnt lgkmcnt(0)
	v_max_i32_e32 v8, v15, v8
	ds_bpermute_b32 v9, v9, v8
	s_waitcnt lgkmcnt(0)
	v_max_i32_e32 v8, v8, v9
	ds_bpermute_b32 v9, v10, v8
	v_xor_b32_e32 v10, 4, v7
	s_delay_alu instid0(VALU_DEP_1) | instskip(SKIP_1) | instid1(VALU_DEP_1)
	v_cmp_gt_i32_e32 vcc_lo, 32, v10
	v_cndmask_b32_e32 v10, v7, v10, vcc_lo
	v_lshlrev_b32_e32 v10, 2, v10
	s_waitcnt lgkmcnt(0)
	v_max_i32_e32 v8, v8, v9
	ds_bpermute_b32 v9, v10, v8
	v_xor_b32_e32 v10, 2, v7
	s_delay_alu instid0(VALU_DEP_1) | instskip(SKIP_1) | instid1(VALU_DEP_1)
	v_cmp_gt_i32_e32 vcc_lo, 32, v10
	v_cndmask_b32_e32 v10, v7, v10, vcc_lo
	v_lshlrev_b32_e32 v10, 2, v10
	s_waitcnt lgkmcnt(0)
	v_max_i32_e32 v8, v8, v9
	ds_bpermute_b32 v9, v10, v8
	v_xor_b32_e32 v10, 1, v7
	s_delay_alu instid0(VALU_DEP_1) | instskip(SKIP_4) | instid1(VALU_DEP_3)
	v_cmp_gt_i32_e32 vcc_lo, 32, v10
	v_cndmask_b32_e32 v10, v7, v10, vcc_lo
	v_cmp_eq_u32_e32 vcc_lo, 63, v0
	s_waitcnt lgkmcnt(0)
	v_max_i32_e32 v7, v8, v9
	v_lshlrev_b32_e32 v8, 2, v10
	ds_bpermute_b32 v8, v8, v7
	s_and_b32 exec_lo, exec_lo, vcc_lo
	s_cbranch_execz .LBB6_37
; %bb.28:
	s_waitcnt lgkmcnt(0)
	v_max_i32_e32 v0, v7, v8
	v_lshlrev_b64 v[7:8], 2, v[1:2]
	s_mov_b32 s12, exec_lo
	s_mov_b64 s[0:1], 0
	s_delay_alu instid0(VALU_DEP_2) | instskip(NEXT) | instid1(VALU_DEP_2)
	v_add_nc_u32_e32 v9, 1, v0
	v_add_co_u32 v7, vcc_lo, s10, v7
	s_delay_alu instid0(VALU_DEP_3)
	v_add_co_ci_u32_e32 v8, vcc_lo, s11, v8, vcc_lo
	v_sub_co_u32 v0, vcc_lo, v13, v5
	v_sub_co_ci_u32_e32 v2, vcc_lo, v14, v6, vcc_lo
	ds_store_b32 v12, v9
	global_store_b32 v[7:8], v9, off
.LBB6_29:                               ; =>This Inner Loop Header: Depth=1
	s_ctz_i32_b32 s13, s12
	s_delay_alu instid0(SALU_CYCLE_1) | instskip(SKIP_1) | instid1(VALU_DEP_1)
	v_readlane_b32 s11, v2, s13
	v_readlane_b32 s10, v0, s13
	v_cmp_gt_u64_e64 s14, s[0:1], s[10:11]
	s_delay_alu instid0(VALU_DEP_1) | instskip(SKIP_3) | instid1(SALU_CYCLE_1)
	s_and_b32 s14, s14, exec_lo
	s_cselect_b32 s1, s1, s11
	s_cselect_b32 s0, s0, s10
	s_lshl_b32 s10, 1, s13
	s_and_not1_b32 s12, s12, s10
	s_delay_alu instid0(SALU_CYCLE_1)
	s_cmp_lg_u32 s12, 0
	s_cbranch_scc1 .LBB6_29
; %bb.30:
	v_mbcnt_lo_u32_b32 v0, exec_lo, 0
	s_mov_b32 s10, exec_lo
	s_delay_alu instid0(VALU_DEP_1)
	v_cmpx_eq_u32_e32 0, v0
	s_xor_b32 s10, exec_lo, s10
	s_cbranch_execz .LBB6_32
; %bb.31:
	v_mov_b32_e32 v6, s1
	v_dual_mov_b32 v0, 0 :: v_dual_mov_b32 v5, s0
	global_atomic_max_u64 v0, v[5:6], s[4:5]
.LBB6_32:
	s_or_b32 exec_lo, exec_lo, s10
	v_add_co_u32 v2, vcc_lo, s8, v3
	v_add_co_ci_u32_e32 v3, vcc_lo, s9, v4, vcc_lo
	s_cmp_eq_u32 s3, 0
	s_cselect_b32 s0, -1, 0
	global_load_b64 v[2:3], v[2:3], off
	s_waitcnt vmcnt(0)
	v_cmp_eq_u64_e32 vcc_lo, -1, v[2:3]
	s_and_b32 s0, s0, vcc_lo
	s_delay_alu instid0(SALU_CYCLE_1)
	s_and_b32 exec_lo, exec_lo, s0
	s_cbranch_execz .LBB6_37
; %bb.33:
	v_add_nc_u32_e32 v0, s2, v1
	s_mov_b32 s1, exec_lo
	s_brev_b32 s0, -2
.LBB6_34:                               ; =>This Inner Loop Header: Depth=1
	s_ctz_i32_b32 s2, s1
	s_delay_alu instid0(VALU_DEP_1) | instid1(SALU_CYCLE_1)
	v_readlane_b32 s3, v0, s2
	s_lshl_b32 s2, 1, s2
	s_delay_alu instid0(SALU_CYCLE_1) | instskip(NEXT) | instid1(VALU_DEP_1)
	s_and_not1_b32 s1, s1, s2
	s_min_i32 s0, s0, s3
	s_cmp_lg_u32 s1, 0
	s_cbranch_scc1 .LBB6_34
; %bb.35:
	v_mbcnt_lo_u32_b32 v0, exec_lo, 0
	s_mov_b32 s1, exec_lo
	s_delay_alu instid0(VALU_DEP_1)
	v_cmpx_eq_u32_e32 0, v0
	s_xor_b32 s1, exec_lo, s1
	s_cbranch_execz .LBB6_37
; %bb.36:
	v_dual_mov_b32 v0, 0 :: v_dual_mov_b32 v1, s0
	global_atomic_min_i32 v0, v1, s[6:7]
.LBB6_37:
	s_nop 0
	s_sendmsg sendmsg(MSG_DEALLOC_VGPRS)
	s_endpgm
	.section	.rodata,"a",@progbits
	.p2align	6, 0x0
	.amdhsa_kernel _ZN9rocsparseL27csrsv_analysis_upper_kernelILj1024ELj64ELb1EliEEvT3_PKT2_PKS1_PS2_PiS7_PS1_21rocsparse_index_base_20rocsparse_diag_type_
		.amdhsa_group_segment_fixed_size 64
		.amdhsa_private_segment_fixed_size 0
		.amdhsa_kernarg_size 64
		.amdhsa_user_sgpr_count 15
		.amdhsa_user_sgpr_dispatch_ptr 0
		.amdhsa_user_sgpr_queue_ptr 0
		.amdhsa_user_sgpr_kernarg_segment_ptr 1
		.amdhsa_user_sgpr_dispatch_id 0
		.amdhsa_user_sgpr_private_segment_size 0
		.amdhsa_wavefront_size32 1
		.amdhsa_uses_dynamic_stack 0
		.amdhsa_enable_private_segment 0
		.amdhsa_system_sgpr_workgroup_id_x 1
		.amdhsa_system_sgpr_workgroup_id_y 0
		.amdhsa_system_sgpr_workgroup_id_z 0
		.amdhsa_system_sgpr_workgroup_info 0
		.amdhsa_system_vgpr_workitem_id 0
		.amdhsa_next_free_vgpr 17
		.amdhsa_next_free_sgpr 23
		.amdhsa_reserve_vcc 1
		.amdhsa_float_round_mode_32 0
		.amdhsa_float_round_mode_16_64 0
		.amdhsa_float_denorm_mode_32 3
		.amdhsa_float_denorm_mode_16_64 3
		.amdhsa_dx10_clamp 1
		.amdhsa_ieee_mode 1
		.amdhsa_fp16_overflow 0
		.amdhsa_workgroup_processor_mode 1
		.amdhsa_memory_ordered 1
		.amdhsa_forward_progress 0
		.amdhsa_shared_vgpr_count 0
		.amdhsa_exception_fp_ieee_invalid_op 0
		.amdhsa_exception_fp_denorm_src 0
		.amdhsa_exception_fp_ieee_div_zero 0
		.amdhsa_exception_fp_ieee_overflow 0
		.amdhsa_exception_fp_ieee_underflow 0
		.amdhsa_exception_fp_ieee_inexact 0
		.amdhsa_exception_int_div_zero 0
	.end_amdhsa_kernel
	.section	.text._ZN9rocsparseL27csrsv_analysis_upper_kernelILj1024ELj64ELb1EliEEvT3_PKT2_PKS1_PS2_PiS7_PS1_21rocsparse_index_base_20rocsparse_diag_type_,"axG",@progbits,_ZN9rocsparseL27csrsv_analysis_upper_kernelILj1024ELj64ELb1EliEEvT3_PKT2_PKS1_PS2_PiS7_PS1_21rocsparse_index_base_20rocsparse_diag_type_,comdat
.Lfunc_end6:
	.size	_ZN9rocsparseL27csrsv_analysis_upper_kernelILj1024ELj64ELb1EliEEvT3_PKT2_PKS1_PS2_PiS7_PS1_21rocsparse_index_base_20rocsparse_diag_type_, .Lfunc_end6-_ZN9rocsparseL27csrsv_analysis_upper_kernelILj1024ELj64ELb1EliEEvT3_PKT2_PKS1_PS2_PiS7_PS1_21rocsparse_index_base_20rocsparse_diag_type_
                                        ; -- End function
	.section	.AMDGPU.csdata,"",@progbits
; Kernel info:
; codeLenInByte = 1468
; NumSgprs: 25
; NumVgprs: 17
; ScratchSize: 0
; MemoryBound: 0
; FloatMode: 240
; IeeeMode: 1
; LDSByteSize: 64 bytes/workgroup (compile time only)
; SGPRBlocks: 3
; VGPRBlocks: 2
; NumSGPRsForWavesPerEU: 25
; NumVGPRsForWavesPerEU: 17
; Occupancy: 16
; WaveLimiterHint : 1
; COMPUTE_PGM_RSRC2:SCRATCH_EN: 0
; COMPUTE_PGM_RSRC2:USER_SGPR: 15
; COMPUTE_PGM_RSRC2:TRAP_HANDLER: 0
; COMPUTE_PGM_RSRC2:TGID_X_EN: 1
; COMPUTE_PGM_RSRC2:TGID_Y_EN: 0
; COMPUTE_PGM_RSRC2:TGID_Z_EN: 0
; COMPUTE_PGM_RSRC2:TIDIG_COMP_CNT: 0
	.section	.text._ZN9rocsparseL27csrsv_analysis_lower_kernelILj1024ELj64ELb1EliEEvT3_PKT2_PKS1_PS2_PiS7_PS1_21rocsparse_index_base_20rocsparse_diag_type_,"axG",@progbits,_ZN9rocsparseL27csrsv_analysis_lower_kernelILj1024ELj64ELb1EliEEvT3_PKT2_PKS1_PS2_PiS7_PS1_21rocsparse_index_base_20rocsparse_diag_type_,comdat
	.globl	_ZN9rocsparseL27csrsv_analysis_lower_kernelILj1024ELj64ELb1EliEEvT3_PKT2_PKS1_PS2_PiS7_PS1_21rocsparse_index_base_20rocsparse_diag_type_ ; -- Begin function _ZN9rocsparseL27csrsv_analysis_lower_kernelILj1024ELj64ELb1EliEEvT3_PKT2_PKS1_PS2_PiS7_PS1_21rocsparse_index_base_20rocsparse_diag_type_
	.p2align	8
	.type	_ZN9rocsparseL27csrsv_analysis_lower_kernelILj1024ELj64ELb1EliEEvT3_PKT2_PKS1_PS2_PiS7_PS1_21rocsparse_index_base_20rocsparse_diag_type_,@function
_ZN9rocsparseL27csrsv_analysis_lower_kernelILj1024ELj64ELb1EliEEvT3_PKT2_PKS1_PS2_PiS7_PS1_21rocsparse_index_base_20rocsparse_diag_type_: ; @_ZN9rocsparseL27csrsv_analysis_lower_kernelILj1024ELj64ELb1EliEEvT3_PKT2_PKS1_PS2_PiS7_PS1_21rocsparse_index_base_20rocsparse_diag_type_
; %bb.0:
	s_load_b32 s2, s[0:1], 0x0
	v_lshrrev_b32_e32 v2, 6, v0
	s_lshl_b32 s12, s15, 4
	s_delay_alu instid0(VALU_DEP_1) | instid1(SALU_CYCLE_1)
	v_or_b32_e32 v1, s12, v2
	v_lshlrev_b32_e32 v12, 2, v2
	v_mov_b32_e32 v2, 0
	ds_store_b32 v12, v2
	s_waitcnt lgkmcnt(0)
	s_barrier
	buffer_gl0_inv
	v_cmp_gt_i32_e32 vcc_lo, s2, v1
	s_and_saveexec_b32 s2, vcc_lo
	s_cbranch_execz .LBB7_37
; %bb.1:
	s_clause 0x1
	s_load_b64 s[2:3], s[0:1], 0x8
	s_load_b128 s[8:11], s[0:1], 0x18
	v_ashrrev_i32_e32 v2, 31, v1
	v_and_b32_e32 v0, 63, v0
	s_mov_b32 s14, 0
	s_mov_b32 s4, exec_lo
	s_delay_alu instid0(VALU_DEP_2) | instskip(NEXT) | instid1(VALU_DEP_2)
	v_lshlrev_b64 v[3:4], 3, v[1:2]
	v_cmpx_eq_u32_e32 0, v0
	s_cbranch_execz .LBB7_3
; %bb.2:
	v_mov_b32_e32 v5, -1
	s_waitcnt lgkmcnt(0)
	s_delay_alu instid0(VALU_DEP_3) | instskip(SKIP_1) | instid1(VALU_DEP_3)
	v_add_co_u32 v7, vcc_lo, s8, v3
	v_add_co_ci_u32_e32 v8, vcc_lo, s9, v4, vcc_lo
	v_mov_b32_e32 v6, v5
	global_store_b64 v[7:8], v[5:6], off
.LBB7_3:
	s_or_b32 exec_lo, exec_lo, s4
	s_waitcnt lgkmcnt(0)
	s_delay_alu instid0(VALU_DEP_2)
	v_add_co_u32 v5, vcc_lo, s2, v3
	v_add_co_ci_u32_e32 v6, vcc_lo, s3, v4, vcc_lo
	v_mov_b32_e32 v9, -1
	v_mov_b32_e32 v15, 0
	s_mov_b32 s13, exec_lo
	global_load_b128 v[5:8], v[5:6], off
	s_clause 0x1
	s_load_b64 s[2:3], s[0:1], 0x38
	s_load_b128 s[4:7], s[0:1], 0x28
	s_waitcnt vmcnt(0) lgkmcnt(0)
	v_sub_co_u32 v13, vcc_lo, v5, s2
	v_subrev_co_ci_u32_e32 v14, vcc_lo, 0, v6, vcc_lo
	v_sub_co_u32 v5, vcc_lo, v7, s2
	v_subrev_co_ci_u32_e32 v6, vcc_lo, 0, v8, vcc_lo
	s_delay_alu instid0(VALU_DEP_4) | instskip(NEXT) | instid1(VALU_DEP_4)
	v_add_co_u32 v7, vcc_lo, v13, v0
	v_add_co_ci_u32_e32 v8, vcc_lo, 0, v14, vcc_lo
	s_delay_alu instid0(VALU_DEP_1)
	v_cmpx_lt_i64_e64 v[7:8], v[5:6]
	s_cbranch_execz .LBB7_15
; %bb.4:
	s_load_b64 s[0:1], s[0:1], 0x10
	v_mov_b32_e32 v15, 0
                                        ; implicit-def: $sgpr15
                                        ; implicit-def: $sgpr17
                                        ; implicit-def: $sgpr16
	s_branch .LBB7_8
.LBB7_5:                                ;   in Loop: Header=BB7_8 Depth=1
	s_or_b32 exec_lo, exec_lo, s20
.LBB7_6:                                ;   in Loop: Header=BB7_8 Depth=1
	s_delay_alu instid0(SALU_CYCLE_1)
	s_or_b32 exec_lo, exec_lo, s19
	v_add_co_u32 v7, vcc_lo, v7, 64
	v_add_co_ci_u32_e32 v8, vcc_lo, 0, v8, vcc_lo
	v_max_i32_e32 v15, v16, v15
	s_and_not1_b32 s17, s17, exec_lo
	s_and_not1_b32 s16, s16, exec_lo
	s_delay_alu instid0(VALU_DEP_2) | instskip(SKIP_1) | instid1(SALU_CYCLE_1)
	v_cmp_ge_i64_e32 vcc_lo, v[7:8], v[5:6]
	s_and_b32 s19, vcc_lo, exec_lo
	s_or_b32 s17, s17, s19
.LBB7_7:                                ;   in Loop: Header=BB7_8 Depth=1
	s_or_b32 exec_lo, exec_lo, s18
	s_delay_alu instid0(SALU_CYCLE_1) | instskip(NEXT) | instid1(SALU_CYCLE_1)
	s_and_b32 s18, exec_lo, s17
	s_or_b32 s14, s18, s14
	s_and_not1_b32 s15, s15, exec_lo
	s_and_b32 s18, s16, exec_lo
	s_delay_alu instid0(SALU_CYCLE_1)
	s_or_b32 s15, s15, s18
	s_and_not1_b32 exec_lo, exec_lo, s14
	s_cbranch_execz .LBB7_14
.LBB7_8:                                ; =>This Loop Header: Depth=1
                                        ;     Child Loop BB7_12 Depth 2
                                        ;       Child Loop BB7_13 Depth 3
	v_lshlrev_b64 v[9:10], 2, v[7:8]
	s_or_b32 s16, s16, exec_lo
	s_or_b32 s17, s17, exec_lo
	s_mov_b32 s18, exec_lo
	s_waitcnt lgkmcnt(0)
	s_delay_alu instid0(VALU_DEP_1) | instskip(SKIP_4) | instid1(VALU_DEP_1)
	v_add_co_u32 v9, vcc_lo, s0, v9
	v_add_co_ci_u32_e32 v10, vcc_lo, s1, v10, vcc_lo
	global_load_b32 v9, v[9:10], off slc dlc
	s_waitcnt vmcnt(0)
	v_subrev_nc_u32_e32 v9, s2, v9
	v_cmpx_gt_i32_e64 s12, v9
	s_cbranch_execz .LBB7_7
; %bb.9:                                ;   in Loop: Header=BB7_8 Depth=1
	v_ashrrev_i32_e32 v10, 31, v9
	s_mov_b32 s19, exec_lo
	s_delay_alu instid0(VALU_DEP_1) | instskip(NEXT) | instid1(VALU_DEP_1)
	v_lshlrev_b64 v[10:11], 2, v[9:10]
	v_add_co_u32 v10, vcc_lo, s10, v10
	s_delay_alu instid0(VALU_DEP_2)
	v_add_co_ci_u32_e32 v11, vcc_lo, s11, v11, vcc_lo
	global_load_b32 v16, v[10:11], off glc
	s_waitcnt vmcnt(0)
	v_cmpx_eq_u32_e32 0, v16
	s_cbranch_execz .LBB7_6
; %bb.10:                               ;   in Loop: Header=BB7_8 Depth=1
	s_mov_b32 s20, 0
	s_mov_b32 s21, 0
	s_branch .LBB7_12
	.p2align	6
.LBB7_11:                               ;   in Loop: Header=BB7_12 Depth=2
	global_load_b32 v16, v[10:11], off glc
	s_cmpk_lt_u32 s21, 0xf43
	s_cselect_b32 s22, -1, 0
	s_delay_alu instid0(SALU_CYCLE_1) | instskip(SKIP_4) | instid1(SALU_CYCLE_1)
	s_cmp_lg_u32 s22, 0
	s_addc_u32 s21, s21, 0
	s_waitcnt vmcnt(0)
	v_cmp_ne_u32_e32 vcc_lo, 0, v16
	s_or_b32 s20, vcc_lo, s20
	s_and_not1_b32 exec_lo, exec_lo, s20
	s_cbranch_execz .LBB7_5
.LBB7_12:                               ;   Parent Loop BB7_8 Depth=1
                                        ; =>  This Loop Header: Depth=2
                                        ;       Child Loop BB7_13 Depth 3
	s_cmp_eq_u32 s21, 0
	s_mov_b32 s22, s21
	s_cbranch_scc1 .LBB7_11
.LBB7_13:                               ;   Parent Loop BB7_8 Depth=1
                                        ;     Parent Loop BB7_12 Depth=2
                                        ; =>    This Inner Loop Header: Depth=3
	s_add_i32 s22, s22, -1
	s_sleep 1
	s_cmp_eq_u32 s22, 0
	s_cbranch_scc0 .LBB7_13
	s_branch .LBB7_11
.LBB7_14:
	s_or_b32 exec_lo, exec_lo, s14
	s_delay_alu instid0(SALU_CYCLE_1)
	s_and_b32 s14, s15, exec_lo
.LBB7_15:
	s_or_b32 exec_lo, exec_lo, s13
	s_and_saveexec_b32 s0, s14
	s_cbranch_execz .LBB7_27
; %bb.16:
	s_mov_b32 s1, exec_lo
	v_cmpx_eq_u32_e64 v9, v1
	s_cbranch_execz .LBB7_18
; %bb.17:
	v_add_co_u32 v10, vcc_lo, s8, v3
	v_add_co_ci_u32_e32 v11, vcc_lo, s9, v4, vcc_lo
	global_store_b64 v[10:11], v[7:8], off
.LBB7_18:
	s_or_b32 exec_lo, exec_lo, s1
	s_delay_alu instid0(SALU_CYCLE_1)
	s_mov_b32 s1, exec_lo
	v_cmpx_lt_i32_e64 v9, v1
	s_cbranch_execz .LBB7_26
; %bb.19:
	v_subrev_nc_u32_e32 v7, s12, v9
	s_mov_b32 s13, 0
	s_mov_b32 s12, exec_lo
	s_delay_alu instid0(VALU_DEP_1)
	v_lshlrev_b32_e32 v7, 2, v7
	ds_load_b32 v8, v7
	s_waitcnt lgkmcnt(0)
	v_cmpx_eq_u32_e32 0, v8
	s_cbranch_execz .LBB7_25
; %bb.20:
	s_mov_b32 s14, 0
	s_branch .LBB7_22
	.p2align	6
.LBB7_21:                               ;   in Loop: Header=BB7_22 Depth=1
	ds_load_b32 v8, v7
	s_cmpk_lt_u32 s14, 0xf43
	s_cselect_b32 s15, -1, 0
	s_delay_alu instid0(SALU_CYCLE_1) | instskip(SKIP_4) | instid1(SALU_CYCLE_1)
	s_cmp_lg_u32 s15, 0
	s_addc_u32 s14, s14, 0
	s_waitcnt lgkmcnt(0)
	v_cmp_ne_u32_e32 vcc_lo, 0, v8
	s_or_b32 s13, vcc_lo, s13
	s_and_not1_b32 exec_lo, exec_lo, s13
	s_cbranch_execz .LBB7_24
.LBB7_22:                               ; =>This Loop Header: Depth=1
                                        ;     Child Loop BB7_23 Depth 2
	s_cmp_eq_u32 s14, 0
	s_mov_b32 s15, s14
	s_cbranch_scc1 .LBB7_21
.LBB7_23:                               ;   Parent Loop BB7_22 Depth=1
                                        ; =>  This Inner Loop Header: Depth=2
	s_add_i32 s15, s15, -1
	s_sleep 1
	s_cmp_eq_u32 s15, 0
	s_cbranch_scc0 .LBB7_23
	s_branch .LBB7_21
.LBB7_24:
	s_or_b32 exec_lo, exec_lo, s13
.LBB7_25:
	s_delay_alu instid0(SALU_CYCLE_1)
	s_or_b32 exec_lo, exec_lo, s12
	v_max_i32_e32 v15, v8, v15
.LBB7_26:
	s_or_b32 exec_lo, exec_lo, s1
.LBB7_27:
	s_delay_alu instid0(SALU_CYCLE_1)
	s_or_b32 exec_lo, exec_lo, s0
	v_mbcnt_lo_u32_b32 v7, -1, 0
	s_waitcnt_vscnt null, 0x0
	buffer_gl0_inv
	v_or_b32_e32 v8, 32, v7
	v_xor_b32_e32 v9, 16, v7
	v_xor_b32_e32 v10, 8, v7
	s_delay_alu instid0(VALU_DEP_3) | instskip(SKIP_1) | instid1(VALU_DEP_4)
	v_cmp_gt_i32_e32 vcc_lo, 32, v8
	v_cndmask_b32_e32 v8, v7, v8, vcc_lo
	v_cmp_gt_i32_e32 vcc_lo, 32, v9
	v_cndmask_b32_e32 v9, v7, v9, vcc_lo
	;; [unrolled: 2-line block ×3, first 2 shown]
	s_delay_alu instid0(VALU_DEP_1) | instskip(NEXT) | instid1(VALU_DEP_4)
	v_lshlrev_b32_e32 v10, 2, v10
	v_lshlrev_b32_e32 v9, 2, v9
	;; [unrolled: 1-line block ×3, first 2 shown]
	ds_bpermute_b32 v8, v8, v15
	s_waitcnt lgkmcnt(0)
	v_max_i32_e32 v8, v15, v8
	ds_bpermute_b32 v9, v9, v8
	s_waitcnt lgkmcnt(0)
	v_max_i32_e32 v8, v8, v9
	ds_bpermute_b32 v9, v10, v8
	v_xor_b32_e32 v10, 4, v7
	s_delay_alu instid0(VALU_DEP_1) | instskip(SKIP_1) | instid1(VALU_DEP_1)
	v_cmp_gt_i32_e32 vcc_lo, 32, v10
	v_cndmask_b32_e32 v10, v7, v10, vcc_lo
	v_lshlrev_b32_e32 v10, 2, v10
	s_waitcnt lgkmcnt(0)
	v_max_i32_e32 v8, v8, v9
	ds_bpermute_b32 v9, v10, v8
	v_xor_b32_e32 v10, 2, v7
	s_delay_alu instid0(VALU_DEP_1) | instskip(SKIP_1) | instid1(VALU_DEP_1)
	v_cmp_gt_i32_e32 vcc_lo, 32, v10
	v_cndmask_b32_e32 v10, v7, v10, vcc_lo
	v_lshlrev_b32_e32 v10, 2, v10
	s_waitcnt lgkmcnt(0)
	v_max_i32_e32 v8, v8, v9
	ds_bpermute_b32 v9, v10, v8
	v_xor_b32_e32 v10, 1, v7
	s_delay_alu instid0(VALU_DEP_1) | instskip(SKIP_4) | instid1(VALU_DEP_3)
	v_cmp_gt_i32_e32 vcc_lo, 32, v10
	v_cndmask_b32_e32 v10, v7, v10, vcc_lo
	v_cmp_eq_u32_e32 vcc_lo, 63, v0
	s_waitcnt lgkmcnt(0)
	v_max_i32_e32 v7, v8, v9
	v_lshlrev_b32_e32 v8, 2, v10
	ds_bpermute_b32 v8, v8, v7
	s_and_b32 exec_lo, exec_lo, vcc_lo
	s_cbranch_execz .LBB7_37
; %bb.28:
	s_waitcnt lgkmcnt(0)
	v_max_i32_e32 v0, v7, v8
	v_lshlrev_b64 v[7:8], 2, v[1:2]
	s_mov_b32 s12, exec_lo
	s_mov_b64 s[0:1], 0
	s_delay_alu instid0(VALU_DEP_2) | instskip(NEXT) | instid1(VALU_DEP_2)
	v_add_nc_u32_e32 v9, 1, v0
	v_add_co_u32 v7, vcc_lo, s10, v7
	s_delay_alu instid0(VALU_DEP_3)
	v_add_co_ci_u32_e32 v8, vcc_lo, s11, v8, vcc_lo
	v_sub_co_u32 v0, vcc_lo, v5, v13
	v_sub_co_ci_u32_e32 v2, vcc_lo, v6, v14, vcc_lo
	ds_store_b32 v12, v9
	global_store_b32 v[7:8], v9, off
.LBB7_29:                               ; =>This Inner Loop Header: Depth=1
	s_ctz_i32_b32 s13, s12
	s_delay_alu instid0(SALU_CYCLE_1) | instskip(SKIP_1) | instid1(VALU_DEP_1)
	v_readlane_b32 s11, v2, s13
	v_readlane_b32 s10, v0, s13
	v_cmp_gt_u64_e64 s14, s[0:1], s[10:11]
	s_delay_alu instid0(VALU_DEP_1) | instskip(SKIP_3) | instid1(SALU_CYCLE_1)
	s_and_b32 s14, s14, exec_lo
	s_cselect_b32 s1, s1, s11
	s_cselect_b32 s0, s0, s10
	s_lshl_b32 s10, 1, s13
	s_and_not1_b32 s12, s12, s10
	s_delay_alu instid0(SALU_CYCLE_1)
	s_cmp_lg_u32 s12, 0
	s_cbranch_scc1 .LBB7_29
; %bb.30:
	v_mbcnt_lo_u32_b32 v0, exec_lo, 0
	s_mov_b32 s10, exec_lo
	s_delay_alu instid0(VALU_DEP_1)
	v_cmpx_eq_u32_e32 0, v0
	s_xor_b32 s10, exec_lo, s10
	s_cbranch_execz .LBB7_32
; %bb.31:
	v_mov_b32_e32 v6, s1
	v_dual_mov_b32 v0, 0 :: v_dual_mov_b32 v5, s0
	global_atomic_max_u64 v0, v[5:6], s[4:5]
.LBB7_32:
	s_or_b32 exec_lo, exec_lo, s10
	v_add_co_u32 v2, vcc_lo, s8, v3
	v_add_co_ci_u32_e32 v3, vcc_lo, s9, v4, vcc_lo
	s_cmp_eq_u32 s3, 0
	s_cselect_b32 s0, -1, 0
	global_load_b64 v[2:3], v[2:3], off
	s_waitcnt vmcnt(0)
	v_cmp_eq_u64_e32 vcc_lo, -1, v[2:3]
	s_and_b32 s0, s0, vcc_lo
	s_delay_alu instid0(SALU_CYCLE_1)
	s_and_b32 exec_lo, exec_lo, s0
	s_cbranch_execz .LBB7_37
; %bb.33:
	v_add_nc_u32_e32 v0, s2, v1
	s_mov_b32 s1, exec_lo
	s_brev_b32 s0, -2
.LBB7_34:                               ; =>This Inner Loop Header: Depth=1
	s_ctz_i32_b32 s2, s1
	s_delay_alu instid0(VALU_DEP_1) | instid1(SALU_CYCLE_1)
	v_readlane_b32 s3, v0, s2
	s_lshl_b32 s2, 1, s2
	s_delay_alu instid0(SALU_CYCLE_1) | instskip(NEXT) | instid1(VALU_DEP_1)
	s_and_not1_b32 s1, s1, s2
	s_min_i32 s0, s0, s3
	s_cmp_lg_u32 s1, 0
	s_cbranch_scc1 .LBB7_34
; %bb.35:
	v_mbcnt_lo_u32_b32 v0, exec_lo, 0
	s_mov_b32 s1, exec_lo
	s_delay_alu instid0(VALU_DEP_1)
	v_cmpx_eq_u32_e32 0, v0
	s_xor_b32 s1, exec_lo, s1
	s_cbranch_execz .LBB7_37
; %bb.36:
	v_dual_mov_b32 v0, 0 :: v_dual_mov_b32 v1, s0
	global_atomic_min_i32 v0, v1, s[6:7]
.LBB7_37:
	s_nop 0
	s_sendmsg sendmsg(MSG_DEALLOC_VGPRS)
	s_endpgm
	.section	.rodata,"a",@progbits
	.p2align	6, 0x0
	.amdhsa_kernel _ZN9rocsparseL27csrsv_analysis_lower_kernelILj1024ELj64ELb1EliEEvT3_PKT2_PKS1_PS2_PiS7_PS1_21rocsparse_index_base_20rocsparse_diag_type_
		.amdhsa_group_segment_fixed_size 64
		.amdhsa_private_segment_fixed_size 0
		.amdhsa_kernarg_size 64
		.amdhsa_user_sgpr_count 15
		.amdhsa_user_sgpr_dispatch_ptr 0
		.amdhsa_user_sgpr_queue_ptr 0
		.amdhsa_user_sgpr_kernarg_segment_ptr 1
		.amdhsa_user_sgpr_dispatch_id 0
		.amdhsa_user_sgpr_private_segment_size 0
		.amdhsa_wavefront_size32 1
		.amdhsa_uses_dynamic_stack 0
		.amdhsa_enable_private_segment 0
		.amdhsa_system_sgpr_workgroup_id_x 1
		.amdhsa_system_sgpr_workgroup_id_y 0
		.amdhsa_system_sgpr_workgroup_id_z 0
		.amdhsa_system_sgpr_workgroup_info 0
		.amdhsa_system_vgpr_workitem_id 0
		.amdhsa_next_free_vgpr 17
		.amdhsa_next_free_sgpr 23
		.amdhsa_reserve_vcc 1
		.amdhsa_float_round_mode_32 0
		.amdhsa_float_round_mode_16_64 0
		.amdhsa_float_denorm_mode_32 3
		.amdhsa_float_denorm_mode_16_64 3
		.amdhsa_dx10_clamp 1
		.amdhsa_ieee_mode 1
		.amdhsa_fp16_overflow 0
		.amdhsa_workgroup_processor_mode 1
		.amdhsa_memory_ordered 1
		.amdhsa_forward_progress 0
		.amdhsa_shared_vgpr_count 0
		.amdhsa_exception_fp_ieee_invalid_op 0
		.amdhsa_exception_fp_denorm_src 0
		.amdhsa_exception_fp_ieee_div_zero 0
		.amdhsa_exception_fp_ieee_overflow 0
		.amdhsa_exception_fp_ieee_underflow 0
		.amdhsa_exception_fp_ieee_inexact 0
		.amdhsa_exception_int_div_zero 0
	.end_amdhsa_kernel
	.section	.text._ZN9rocsparseL27csrsv_analysis_lower_kernelILj1024ELj64ELb1EliEEvT3_PKT2_PKS1_PS2_PiS7_PS1_21rocsparse_index_base_20rocsparse_diag_type_,"axG",@progbits,_ZN9rocsparseL27csrsv_analysis_lower_kernelILj1024ELj64ELb1EliEEvT3_PKT2_PKS1_PS2_PiS7_PS1_21rocsparse_index_base_20rocsparse_diag_type_,comdat
.Lfunc_end7:
	.size	_ZN9rocsparseL27csrsv_analysis_lower_kernelILj1024ELj64ELb1EliEEvT3_PKT2_PKS1_PS2_PiS7_PS1_21rocsparse_index_base_20rocsparse_diag_type_, .Lfunc_end7-_ZN9rocsparseL27csrsv_analysis_lower_kernelILj1024ELj64ELb1EliEEvT3_PKT2_PKS1_PS2_PiS7_PS1_21rocsparse_index_base_20rocsparse_diag_type_
                                        ; -- End function
	.section	.AMDGPU.csdata,"",@progbits
; Kernel info:
; codeLenInByte = 1440
; NumSgprs: 25
; NumVgprs: 17
; ScratchSize: 0
; MemoryBound: 0
; FloatMode: 240
; IeeeMode: 1
; LDSByteSize: 64 bytes/workgroup (compile time only)
; SGPRBlocks: 3
; VGPRBlocks: 2
; NumSGPRsForWavesPerEU: 25
; NumVGPRsForWavesPerEU: 17
; Occupancy: 16
; WaveLimiterHint : 1
; COMPUTE_PGM_RSRC2:SCRATCH_EN: 0
; COMPUTE_PGM_RSRC2:USER_SGPR: 15
; COMPUTE_PGM_RSRC2:TRAP_HANDLER: 0
; COMPUTE_PGM_RSRC2:TGID_X_EN: 1
; COMPUTE_PGM_RSRC2:TGID_Y_EN: 0
; COMPUTE_PGM_RSRC2:TGID_Z_EN: 0
; COMPUTE_PGM_RSRC2:TIDIG_COMP_CNT: 0
	.section	.text._ZN9rocsparseL27csrsv_analysis_upper_kernelILj1024ELj32ELb0EliEEvT3_PKT2_PKS1_PS2_PiS7_PS1_21rocsparse_index_base_20rocsparse_diag_type_,"axG",@progbits,_ZN9rocsparseL27csrsv_analysis_upper_kernelILj1024ELj32ELb0EliEEvT3_PKT2_PKS1_PS2_PiS7_PS1_21rocsparse_index_base_20rocsparse_diag_type_,comdat
	.globl	_ZN9rocsparseL27csrsv_analysis_upper_kernelILj1024ELj32ELb0EliEEvT3_PKT2_PKS1_PS2_PiS7_PS1_21rocsparse_index_base_20rocsparse_diag_type_ ; -- Begin function _ZN9rocsparseL27csrsv_analysis_upper_kernelILj1024ELj32ELb0EliEEvT3_PKT2_PKS1_PS2_PiS7_PS1_21rocsparse_index_base_20rocsparse_diag_type_
	.p2align	8
	.type	_ZN9rocsparseL27csrsv_analysis_upper_kernelILj1024ELj32ELb0EliEEvT3_PKT2_PKS1_PS2_PiS7_PS1_21rocsparse_index_base_20rocsparse_diag_type_,@function
_ZN9rocsparseL27csrsv_analysis_upper_kernelILj1024ELj32ELb0EliEEvT3_PKT2_PKS1_PS2_PiS7_PS1_21rocsparse_index_base_20rocsparse_diag_type_: ; @_ZN9rocsparseL27csrsv_analysis_upper_kernelILj1024ELj32ELb0EliEEvT3_PKT2_PKS1_PS2_PiS7_PS1_21rocsparse_index_base_20rocsparse_diag_type_
; %bb.0:
	s_load_b32 s2, s[0:1], 0x0
	s_lshl_b32 s3, s15, 5
	v_lshrrev_b32_e32 v2, 5, v0
	s_not_b32 s12, s3
	s_delay_alu instid0(VALU_DEP_1)
	v_lshlrev_b32_e32 v12, 2, v2
	s_waitcnt lgkmcnt(0)
	s_add_i32 s12, s12, s2
	s_mov_b32 s2, exec_lo
	v_sub_nc_u32_e32 v1, s12, v2
	v_mov_b32_e32 v2, 0
	ds_store_b32 v12, v2
	s_waitcnt lgkmcnt(0)
	s_barrier
	buffer_gl0_inv
	v_cmpx_lt_i32_e32 -1, v1
	s_cbranch_execz .LBB8_32
; %bb.1:
	s_clause 0x1
	s_load_b64 s[2:3], s[0:1], 0x8
	s_load_b128 s[8:11], s[0:1], 0x18
	v_lshlrev_b64 v[3:4], 3, v[1:2]
	v_and_b32_e32 v0, 31, v0
	s_mov_b32 s4, exec_lo
	s_delay_alu instid0(VALU_DEP_1)
	v_cmpx_eq_u32_e32 0, v0
	s_cbranch_execz .LBB8_3
; %bb.2:
	v_mov_b32_e32 v5, -1
	s_waitcnt lgkmcnt(0)
	v_add_co_u32 v7, vcc_lo, s8, v3
	v_add_co_ci_u32_e32 v8, vcc_lo, s9, v4, vcc_lo
	s_delay_alu instid0(VALU_DEP_3)
	v_mov_b32_e32 v6, v5
	global_store_b64 v[7:8], v[5:6], off
.LBB8_3:
	s_or_b32 exec_lo, exec_lo, s4
	s_waitcnt lgkmcnt(0)
	v_add_co_u32 v5, vcc_lo, s2, v3
	v_add_co_ci_u32_e32 v6, vcc_lo, s3, v4, vcc_lo
	s_clause 0x1
	s_load_b64 s[2:3], s[0:1], 0x38
	s_load_b128 s[4:7], s[0:1], 0x28
	v_not_b32_e32 v9, v0
	global_load_b128 v[5:8], v[5:6], off
	v_mov_b32_e32 v15, 0
	s_mov_b32 s14, -1
	s_mov_b32 s13, exec_lo
	v_ashrrev_i32_e32 v10, 31, v9
	s_waitcnt vmcnt(0) lgkmcnt(0)
	v_sub_co_u32 v13, vcc_lo, v7, s2
	v_subrev_co_ci_u32_e32 v14, vcc_lo, 0, v8, vcc_lo
	v_sub_co_u32 v5, vcc_lo, v5, s2
	v_subrev_co_ci_u32_e32 v6, vcc_lo, 0, v6, vcc_lo
	s_delay_alu instid0(VALU_DEP_4) | instskip(NEXT) | instid1(VALU_DEP_4)
	v_add_co_u32 v7, vcc_lo, v13, v9
	v_add_co_ci_u32_e32 v8, vcc_lo, v14, v10, vcc_lo
	v_mov_b32_e32 v9, -1
	s_delay_alu instid0(VALU_DEP_2)
	v_cmpx_ge_i64_e64 v[7:8], v[5:6]
	s_cbranch_execz .LBB8_13
; %bb.4:
	s_load_b64 s[0:1], s[0:1], 0x10
	v_mov_b32_e32 v15, 0
	s_mov_b32 s14, 0
                                        ; implicit-def: $sgpr15
                                        ; implicit-def: $sgpr17
                                        ; implicit-def: $sgpr16
	s_branch .LBB8_7
.LBB8_5:                                ;   in Loop: Header=BB8_7 Depth=1
	s_or_b32 exec_lo, exec_lo, s19
	v_add_co_u32 v7, vcc_lo, 0xffffffe0, v7
	v_add_co_ci_u32_e32 v8, vcc_lo, -1, v8, vcc_lo
	v_max_i32_e32 v15, v16, v15
	s_and_not1_b32 s17, s17, exec_lo
	s_or_b32 s16, s16, exec_lo
	s_delay_alu instid0(VALU_DEP_2) | instskip(SKIP_1) | instid1(SALU_CYCLE_1)
	v_cmp_lt_i64_e32 vcc_lo, v[7:8], v[5:6]
	s_and_b32 s19, vcc_lo, exec_lo
	s_or_b32 s17, s17, s19
.LBB8_6:                                ;   in Loop: Header=BB8_7 Depth=1
	s_or_b32 exec_lo, exec_lo, s18
	s_delay_alu instid0(SALU_CYCLE_1) | instskip(NEXT) | instid1(SALU_CYCLE_1)
	s_and_b32 s18, exec_lo, s17
	s_or_b32 s14, s18, s14
	s_and_not1_b32 s15, s15, exec_lo
	s_and_b32 s18, s16, exec_lo
	s_delay_alu instid0(SALU_CYCLE_1)
	s_or_b32 s15, s15, s18
	s_and_not1_b32 exec_lo, exec_lo, s14
	s_cbranch_execz .LBB8_12
.LBB8_7:                                ; =>This Loop Header: Depth=1
                                        ;     Child Loop BB8_10 Depth 2
	v_lshlrev_b64 v[9:10], 2, v[7:8]
	s_and_not1_b32 s16, s16, exec_lo
	s_or_b32 s17, s17, exec_lo
	s_mov_b32 s18, exec_lo
	s_waitcnt lgkmcnt(0)
	s_delay_alu instid0(VALU_DEP_1) | instskip(SKIP_4) | instid1(VALU_DEP_1)
	v_add_co_u32 v9, vcc_lo, s0, v9
	v_add_co_ci_u32_e32 v10, vcc_lo, s1, v10, vcc_lo
	global_load_b32 v9, v[9:10], off slc dlc
	s_waitcnt vmcnt(0)
	v_subrev_nc_u32_e32 v9, s2, v9
	v_cmpx_lt_i32_e64 s12, v9
	s_cbranch_execz .LBB8_6
; %bb.8:                                ;   in Loop: Header=BB8_7 Depth=1
	v_ashrrev_i32_e32 v10, 31, v9
	s_mov_b32 s19, exec_lo
	s_delay_alu instid0(VALU_DEP_1) | instskip(NEXT) | instid1(VALU_DEP_1)
	v_lshlrev_b64 v[10:11], 2, v[9:10]
	v_add_co_u32 v10, vcc_lo, s10, v10
	s_delay_alu instid0(VALU_DEP_2)
	v_add_co_ci_u32_e32 v11, vcc_lo, s11, v11, vcc_lo
	global_load_b32 v16, v[10:11], off glc
	s_waitcnt vmcnt(0)
	v_cmpx_eq_u32_e32 0, v16
	s_cbranch_execz .LBB8_5
; %bb.9:                                ;   in Loop: Header=BB8_7 Depth=1
	s_mov_b32 s20, 0
.LBB8_10:                               ;   Parent Loop BB8_7 Depth=1
                                        ; =>  This Inner Loop Header: Depth=2
	global_load_b32 v16, v[10:11], off glc
	s_waitcnt vmcnt(0)
	v_cmp_ne_u32_e32 vcc_lo, 0, v16
	s_or_b32 s20, vcc_lo, s20
	s_delay_alu instid0(SALU_CYCLE_1)
	s_and_not1_b32 exec_lo, exec_lo, s20
	s_cbranch_execnz .LBB8_10
; %bb.11:                               ;   in Loop: Header=BB8_7 Depth=1
	s_or_b32 exec_lo, exec_lo, s20
	s_branch .LBB8_5
.LBB8_12:
	s_or_b32 exec_lo, exec_lo, s14
	s_delay_alu instid0(SALU_CYCLE_1)
	s_or_not1_b32 s14, s15, exec_lo
.LBB8_13:
	s_or_b32 exec_lo, exec_lo, s13
	s_xor_b32 s1, s14, -1
	s_delay_alu instid0(SALU_CYCLE_1)
	s_and_saveexec_b32 s0, s1
	s_cbranch_execz .LBB8_22
; %bb.14:
	s_mov_b32 s1, exec_lo
	v_cmpx_eq_u32_e64 v9, v1
	s_cbranch_execz .LBB8_16
; %bb.15:
	v_add_co_u32 v10, vcc_lo, s8, v3
	v_add_co_ci_u32_e32 v11, vcc_lo, s9, v4, vcc_lo
	global_store_b64 v[10:11], v[7:8], off
.LBB8_16:
	s_or_b32 exec_lo, exec_lo, s1
	s_delay_alu instid0(SALU_CYCLE_1)
	s_mov_b32 s1, exec_lo
	v_cmpx_gt_i32_e64 v9, v1
	s_cbranch_execz .LBB8_21
; %bb.17:
	v_sub_nc_u32_e32 v7, s12, v9
	s_mov_b32 s13, 0
	s_mov_b32 s12, exec_lo
	s_delay_alu instid0(VALU_DEP_1)
	v_lshlrev_b32_e32 v8, 2, v7
	ds_load_b32 v7, v8
	s_waitcnt lgkmcnt(0)
	v_cmpx_eq_u32_e32 0, v7
	s_cbranch_execz .LBB8_20
.LBB8_18:                               ; =>This Inner Loop Header: Depth=1
	ds_load_b32 v7, v8
	s_waitcnt lgkmcnt(0)
	v_cmp_ne_u32_e32 vcc_lo, 0, v7
	s_or_b32 s13, vcc_lo, s13
	s_delay_alu instid0(SALU_CYCLE_1)
	s_and_not1_b32 exec_lo, exec_lo, s13
	s_cbranch_execnz .LBB8_18
; %bb.19:
	s_or_b32 exec_lo, exec_lo, s13
.LBB8_20:
	s_delay_alu instid0(SALU_CYCLE_1)
	s_or_b32 exec_lo, exec_lo, s12
	v_max_i32_e32 v15, v7, v15
.LBB8_21:
	s_or_b32 exec_lo, exec_lo, s1
.LBB8_22:
	s_delay_alu instid0(SALU_CYCLE_1)
	s_or_b32 exec_lo, exec_lo, s0
	v_mbcnt_lo_u32_b32 v7, -1, 0
	s_waitcnt_vscnt null, 0x0
	buffer_gl0_inv
	v_xor_b32_e32 v8, 16, v7
	v_xor_b32_e32 v9, 8, v7
	v_xor_b32_e32 v10, 4, v7
	s_delay_alu instid0(VALU_DEP_3) | instskip(SKIP_1) | instid1(VALU_DEP_4)
	v_cmp_gt_i32_e32 vcc_lo, 32, v8
	v_cndmask_b32_e32 v8, v7, v8, vcc_lo
	v_cmp_gt_i32_e32 vcc_lo, 32, v9
	v_cndmask_b32_e32 v9, v7, v9, vcc_lo
	;; [unrolled: 2-line block ×3, first 2 shown]
	s_delay_alu instid0(VALU_DEP_1) | instskip(NEXT) | instid1(VALU_DEP_4)
	v_lshlrev_b32_e32 v10, 2, v10
	v_lshlrev_b32_e32 v9, 2, v9
	;; [unrolled: 1-line block ×3, first 2 shown]
	ds_bpermute_b32 v8, v8, v15
	s_waitcnt lgkmcnt(0)
	v_max_i32_e32 v8, v15, v8
	ds_bpermute_b32 v9, v9, v8
	s_waitcnt lgkmcnt(0)
	v_max_i32_e32 v8, v8, v9
	ds_bpermute_b32 v9, v10, v8
	v_xor_b32_e32 v10, 2, v7
	s_delay_alu instid0(VALU_DEP_1) | instskip(SKIP_1) | instid1(VALU_DEP_1)
	v_cmp_gt_i32_e32 vcc_lo, 32, v10
	v_cndmask_b32_e32 v10, v7, v10, vcc_lo
	v_lshlrev_b32_e32 v10, 2, v10
	s_waitcnt lgkmcnt(0)
	v_max_i32_e32 v8, v8, v9
	ds_bpermute_b32 v9, v10, v8
	v_xor_b32_e32 v10, 1, v7
	s_delay_alu instid0(VALU_DEP_1) | instskip(SKIP_4) | instid1(VALU_DEP_3)
	v_cmp_gt_i32_e32 vcc_lo, 32, v10
	v_cndmask_b32_e32 v10, v7, v10, vcc_lo
	v_cmp_eq_u32_e32 vcc_lo, 31, v0
	s_waitcnt lgkmcnt(0)
	v_max_i32_e32 v7, v8, v9
	v_lshlrev_b32_e32 v8, 2, v10
	ds_bpermute_b32 v8, v8, v7
	s_and_b32 exec_lo, exec_lo, vcc_lo
	s_cbranch_execz .LBB8_32
; %bb.23:
	s_waitcnt lgkmcnt(0)
	v_max_i32_e32 v0, v7, v8
	v_lshlrev_b64 v[7:8], 2, v[1:2]
	s_mov_b32 s12, exec_lo
	s_mov_b64 s[0:1], 0
	s_delay_alu instid0(VALU_DEP_2) | instskip(NEXT) | instid1(VALU_DEP_2)
	v_add_nc_u32_e32 v9, 1, v0
	v_add_co_u32 v7, vcc_lo, s10, v7
	s_delay_alu instid0(VALU_DEP_3)
	v_add_co_ci_u32_e32 v8, vcc_lo, s11, v8, vcc_lo
	v_sub_co_u32 v0, vcc_lo, v13, v5
	v_sub_co_ci_u32_e32 v2, vcc_lo, v14, v6, vcc_lo
	ds_store_b32 v12, v9
	global_store_b32 v[7:8], v9, off
.LBB8_24:                               ; =>This Inner Loop Header: Depth=1
	s_ctz_i32_b32 s13, s12
	s_delay_alu instid0(SALU_CYCLE_1) | instskip(SKIP_1) | instid1(VALU_DEP_1)
	v_readlane_b32 s11, v2, s13
	v_readlane_b32 s10, v0, s13
	v_cmp_gt_u64_e64 s14, s[0:1], s[10:11]
	s_delay_alu instid0(VALU_DEP_1) | instskip(SKIP_3) | instid1(SALU_CYCLE_1)
	s_and_b32 s14, s14, exec_lo
	s_cselect_b32 s1, s1, s11
	s_cselect_b32 s0, s0, s10
	s_lshl_b32 s10, 1, s13
	s_and_not1_b32 s12, s12, s10
	s_delay_alu instid0(SALU_CYCLE_1)
	s_cmp_lg_u32 s12, 0
	s_cbranch_scc1 .LBB8_24
; %bb.25:
	v_mbcnt_lo_u32_b32 v0, exec_lo, 0
	s_mov_b32 s10, exec_lo
	s_delay_alu instid0(VALU_DEP_1)
	v_cmpx_eq_u32_e32 0, v0
	s_xor_b32 s10, exec_lo, s10
	s_cbranch_execz .LBB8_27
; %bb.26:
	v_mov_b32_e32 v6, s1
	v_dual_mov_b32 v0, 0 :: v_dual_mov_b32 v5, s0
	global_atomic_max_u64 v0, v[5:6], s[4:5]
.LBB8_27:
	s_or_b32 exec_lo, exec_lo, s10
	v_add_co_u32 v2, vcc_lo, s8, v3
	v_add_co_ci_u32_e32 v3, vcc_lo, s9, v4, vcc_lo
	s_cmp_eq_u32 s3, 0
	s_cselect_b32 s0, -1, 0
	global_load_b64 v[2:3], v[2:3], off
	s_waitcnt vmcnt(0)
	v_cmp_eq_u64_e32 vcc_lo, -1, v[2:3]
	s_and_b32 s0, s0, vcc_lo
	s_delay_alu instid0(SALU_CYCLE_1)
	s_and_b32 exec_lo, exec_lo, s0
	s_cbranch_execz .LBB8_32
; %bb.28:
	v_add_nc_u32_e32 v0, s2, v1
	s_mov_b32 s1, exec_lo
	s_brev_b32 s0, -2
.LBB8_29:                               ; =>This Inner Loop Header: Depth=1
	s_ctz_i32_b32 s2, s1
	s_delay_alu instid0(VALU_DEP_1) | instid1(SALU_CYCLE_1)
	v_readlane_b32 s3, v0, s2
	s_lshl_b32 s2, 1, s2
	s_delay_alu instid0(SALU_CYCLE_1) | instskip(NEXT) | instid1(VALU_DEP_1)
	s_and_not1_b32 s1, s1, s2
	s_min_i32 s0, s0, s3
	s_cmp_lg_u32 s1, 0
	s_cbranch_scc1 .LBB8_29
; %bb.30:
	v_mbcnt_lo_u32_b32 v0, exec_lo, 0
	s_mov_b32 s1, exec_lo
	s_delay_alu instid0(VALU_DEP_1)
	v_cmpx_eq_u32_e32 0, v0
	s_xor_b32 s1, exec_lo, s1
	s_cbranch_execz .LBB8_32
; %bb.31:
	v_dual_mov_b32 v0, 0 :: v_dual_mov_b32 v1, s0
	global_atomic_min_i32 v0, v1, s[6:7]
.LBB8_32:
	s_nop 0
	s_sendmsg sendmsg(MSG_DEALLOC_VGPRS)
	s_endpgm
	.section	.rodata,"a",@progbits
	.p2align	6, 0x0
	.amdhsa_kernel _ZN9rocsparseL27csrsv_analysis_upper_kernelILj1024ELj32ELb0EliEEvT3_PKT2_PKS1_PS2_PiS7_PS1_21rocsparse_index_base_20rocsparse_diag_type_
		.amdhsa_group_segment_fixed_size 128
		.amdhsa_private_segment_fixed_size 0
		.amdhsa_kernarg_size 64
		.amdhsa_user_sgpr_count 15
		.amdhsa_user_sgpr_dispatch_ptr 0
		.amdhsa_user_sgpr_queue_ptr 0
		.amdhsa_user_sgpr_kernarg_segment_ptr 1
		.amdhsa_user_sgpr_dispatch_id 0
		.amdhsa_user_sgpr_private_segment_size 0
		.amdhsa_wavefront_size32 1
		.amdhsa_uses_dynamic_stack 0
		.amdhsa_enable_private_segment 0
		.amdhsa_system_sgpr_workgroup_id_x 1
		.amdhsa_system_sgpr_workgroup_id_y 0
		.amdhsa_system_sgpr_workgroup_id_z 0
		.amdhsa_system_sgpr_workgroup_info 0
		.amdhsa_system_vgpr_workitem_id 0
		.amdhsa_next_free_vgpr 17
		.amdhsa_next_free_sgpr 21
		.amdhsa_reserve_vcc 1
		.amdhsa_float_round_mode_32 0
		.amdhsa_float_round_mode_16_64 0
		.amdhsa_float_denorm_mode_32 3
		.amdhsa_float_denorm_mode_16_64 3
		.amdhsa_dx10_clamp 1
		.amdhsa_ieee_mode 1
		.amdhsa_fp16_overflow 0
		.amdhsa_workgroup_processor_mode 1
		.amdhsa_memory_ordered 1
		.amdhsa_forward_progress 0
		.amdhsa_shared_vgpr_count 0
		.amdhsa_exception_fp_ieee_invalid_op 0
		.amdhsa_exception_fp_denorm_src 0
		.amdhsa_exception_fp_ieee_div_zero 0
		.amdhsa_exception_fp_ieee_overflow 0
		.amdhsa_exception_fp_ieee_underflow 0
		.amdhsa_exception_fp_ieee_inexact 0
		.amdhsa_exception_int_div_zero 0
	.end_amdhsa_kernel
	.section	.text._ZN9rocsparseL27csrsv_analysis_upper_kernelILj1024ELj32ELb0EliEEvT3_PKT2_PKS1_PS2_PiS7_PS1_21rocsparse_index_base_20rocsparse_diag_type_,"axG",@progbits,_ZN9rocsparseL27csrsv_analysis_upper_kernelILj1024ELj32ELb0EliEEvT3_PKT2_PKS1_PS2_PiS7_PS1_21rocsparse_index_base_20rocsparse_diag_type_,comdat
.Lfunc_end8:
	.size	_ZN9rocsparseL27csrsv_analysis_upper_kernelILj1024ELj32ELb0EliEEvT3_PKT2_PKS1_PS2_PiS7_PS1_21rocsparse_index_base_20rocsparse_diag_type_, .Lfunc_end8-_ZN9rocsparseL27csrsv_analysis_upper_kernelILj1024ELj32ELb0EliEEvT3_PKT2_PKS1_PS2_PiS7_PS1_21rocsparse_index_base_20rocsparse_diag_type_
                                        ; -- End function
	.section	.AMDGPU.csdata,"",@progbits
; Kernel info:
; codeLenInByte = 1320
; NumSgprs: 23
; NumVgprs: 17
; ScratchSize: 0
; MemoryBound: 0
; FloatMode: 240
; IeeeMode: 1
; LDSByteSize: 128 bytes/workgroup (compile time only)
; SGPRBlocks: 2
; VGPRBlocks: 2
; NumSGPRsForWavesPerEU: 23
; NumVGPRsForWavesPerEU: 17
; Occupancy: 16
; WaveLimiterHint : 1
; COMPUTE_PGM_RSRC2:SCRATCH_EN: 0
; COMPUTE_PGM_RSRC2:USER_SGPR: 15
; COMPUTE_PGM_RSRC2:TRAP_HANDLER: 0
; COMPUTE_PGM_RSRC2:TGID_X_EN: 1
; COMPUTE_PGM_RSRC2:TGID_Y_EN: 0
; COMPUTE_PGM_RSRC2:TGID_Z_EN: 0
; COMPUTE_PGM_RSRC2:TIDIG_COMP_CNT: 0
	.section	.text._ZN9rocsparseL27csrsv_analysis_lower_kernelILj1024ELj32ELb0EliEEvT3_PKT2_PKS1_PS2_PiS7_PS1_21rocsparse_index_base_20rocsparse_diag_type_,"axG",@progbits,_ZN9rocsparseL27csrsv_analysis_lower_kernelILj1024ELj32ELb0EliEEvT3_PKT2_PKS1_PS2_PiS7_PS1_21rocsparse_index_base_20rocsparse_diag_type_,comdat
	.globl	_ZN9rocsparseL27csrsv_analysis_lower_kernelILj1024ELj32ELb0EliEEvT3_PKT2_PKS1_PS2_PiS7_PS1_21rocsparse_index_base_20rocsparse_diag_type_ ; -- Begin function _ZN9rocsparseL27csrsv_analysis_lower_kernelILj1024ELj32ELb0EliEEvT3_PKT2_PKS1_PS2_PiS7_PS1_21rocsparse_index_base_20rocsparse_diag_type_
	.p2align	8
	.type	_ZN9rocsparseL27csrsv_analysis_lower_kernelILj1024ELj32ELb0EliEEvT3_PKT2_PKS1_PS2_PiS7_PS1_21rocsparse_index_base_20rocsparse_diag_type_,@function
_ZN9rocsparseL27csrsv_analysis_lower_kernelILj1024ELj32ELb0EliEEvT3_PKT2_PKS1_PS2_PiS7_PS1_21rocsparse_index_base_20rocsparse_diag_type_: ; @_ZN9rocsparseL27csrsv_analysis_lower_kernelILj1024ELj32ELb0EliEEvT3_PKT2_PKS1_PS2_PiS7_PS1_21rocsparse_index_base_20rocsparse_diag_type_
; %bb.0:
	s_load_b32 s2, s[0:1], 0x0
	v_lshrrev_b32_e32 v2, 5, v0
	s_lshl_b32 s12, s15, 5
	s_delay_alu instid0(VALU_DEP_1) | instid1(SALU_CYCLE_1)
	v_or_b32_e32 v1, s12, v2
	v_lshlrev_b32_e32 v12, 2, v2
	v_mov_b32_e32 v2, 0
	ds_store_b32 v12, v2
	s_waitcnt lgkmcnt(0)
	s_barrier
	buffer_gl0_inv
	v_cmp_gt_i32_e32 vcc_lo, s2, v1
	s_and_saveexec_b32 s2, vcc_lo
	s_cbranch_execz .LBB9_32
; %bb.1:
	s_clause 0x1
	s_load_b64 s[2:3], s[0:1], 0x8
	s_load_b128 s[8:11], s[0:1], 0x18
	v_ashrrev_i32_e32 v2, 31, v1
	v_and_b32_e32 v0, 31, v0
	s_mov_b32 s14, 0
	s_mov_b32 s4, exec_lo
	s_delay_alu instid0(VALU_DEP_2) | instskip(NEXT) | instid1(VALU_DEP_2)
	v_lshlrev_b64 v[3:4], 3, v[1:2]
	v_cmpx_eq_u32_e32 0, v0
	s_cbranch_execz .LBB9_3
; %bb.2:
	v_mov_b32_e32 v5, -1
	s_waitcnt lgkmcnt(0)
	s_delay_alu instid0(VALU_DEP_3) | instskip(SKIP_1) | instid1(VALU_DEP_3)
	v_add_co_u32 v7, vcc_lo, s8, v3
	v_add_co_ci_u32_e32 v8, vcc_lo, s9, v4, vcc_lo
	v_mov_b32_e32 v6, v5
	global_store_b64 v[7:8], v[5:6], off
.LBB9_3:
	s_or_b32 exec_lo, exec_lo, s4
	s_waitcnt lgkmcnt(0)
	s_delay_alu instid0(VALU_DEP_2)
	v_add_co_u32 v5, vcc_lo, s2, v3
	v_add_co_ci_u32_e32 v6, vcc_lo, s3, v4, vcc_lo
	v_mov_b32_e32 v9, -1
	v_mov_b32_e32 v15, 0
	s_mov_b32 s13, exec_lo
	global_load_b128 v[5:8], v[5:6], off
	s_clause 0x1
	s_load_b64 s[2:3], s[0:1], 0x38
	s_load_b128 s[4:7], s[0:1], 0x28
	s_waitcnt vmcnt(0) lgkmcnt(0)
	v_sub_co_u32 v13, vcc_lo, v5, s2
	v_subrev_co_ci_u32_e32 v14, vcc_lo, 0, v6, vcc_lo
	v_sub_co_u32 v5, vcc_lo, v7, s2
	v_subrev_co_ci_u32_e32 v6, vcc_lo, 0, v8, vcc_lo
	s_delay_alu instid0(VALU_DEP_4) | instskip(NEXT) | instid1(VALU_DEP_4)
	v_add_co_u32 v7, vcc_lo, v13, v0
	v_add_co_ci_u32_e32 v8, vcc_lo, 0, v14, vcc_lo
	s_delay_alu instid0(VALU_DEP_1)
	v_cmpx_lt_i64_e64 v[7:8], v[5:6]
	s_cbranch_execz .LBB9_13
; %bb.4:
	s_load_b64 s[0:1], s[0:1], 0x10
	v_mov_b32_e32 v15, 0
                                        ; implicit-def: $sgpr15
                                        ; implicit-def: $sgpr17
                                        ; implicit-def: $sgpr16
	s_branch .LBB9_7
.LBB9_5:                                ;   in Loop: Header=BB9_7 Depth=1
	s_or_b32 exec_lo, exec_lo, s19
	v_add_co_u32 v7, vcc_lo, v7, 32
	v_add_co_ci_u32_e32 v8, vcc_lo, 0, v8, vcc_lo
	v_max_i32_e32 v15, v16, v15
	s_and_not1_b32 s17, s17, exec_lo
	s_and_not1_b32 s16, s16, exec_lo
	s_delay_alu instid0(VALU_DEP_2) | instskip(SKIP_1) | instid1(SALU_CYCLE_1)
	v_cmp_ge_i64_e32 vcc_lo, v[7:8], v[5:6]
	s_and_b32 s19, vcc_lo, exec_lo
	s_or_b32 s17, s17, s19
.LBB9_6:                                ;   in Loop: Header=BB9_7 Depth=1
	s_or_b32 exec_lo, exec_lo, s18
	s_delay_alu instid0(SALU_CYCLE_1) | instskip(NEXT) | instid1(SALU_CYCLE_1)
	s_and_b32 s18, exec_lo, s17
	s_or_b32 s14, s18, s14
	s_and_not1_b32 s15, s15, exec_lo
	s_and_b32 s18, s16, exec_lo
	s_delay_alu instid0(SALU_CYCLE_1)
	s_or_b32 s15, s15, s18
	s_and_not1_b32 exec_lo, exec_lo, s14
	s_cbranch_execz .LBB9_12
.LBB9_7:                                ; =>This Loop Header: Depth=1
                                        ;     Child Loop BB9_10 Depth 2
	v_lshlrev_b64 v[9:10], 2, v[7:8]
	s_or_b32 s16, s16, exec_lo
	s_or_b32 s17, s17, exec_lo
	s_mov_b32 s18, exec_lo
	s_waitcnt lgkmcnt(0)
	s_delay_alu instid0(VALU_DEP_1) | instskip(SKIP_4) | instid1(VALU_DEP_1)
	v_add_co_u32 v9, vcc_lo, s0, v9
	v_add_co_ci_u32_e32 v10, vcc_lo, s1, v10, vcc_lo
	global_load_b32 v9, v[9:10], off slc dlc
	s_waitcnt vmcnt(0)
	v_subrev_nc_u32_e32 v9, s2, v9
	v_cmpx_gt_i32_e64 s12, v9
	s_cbranch_execz .LBB9_6
; %bb.8:                                ;   in Loop: Header=BB9_7 Depth=1
	v_ashrrev_i32_e32 v10, 31, v9
	s_mov_b32 s19, exec_lo
	s_delay_alu instid0(VALU_DEP_1) | instskip(NEXT) | instid1(VALU_DEP_1)
	v_lshlrev_b64 v[10:11], 2, v[9:10]
	v_add_co_u32 v10, vcc_lo, s10, v10
	s_delay_alu instid0(VALU_DEP_2)
	v_add_co_ci_u32_e32 v11, vcc_lo, s11, v11, vcc_lo
	global_load_b32 v16, v[10:11], off glc
	s_waitcnt vmcnt(0)
	v_cmpx_eq_u32_e32 0, v16
	s_cbranch_execz .LBB9_5
; %bb.9:                                ;   in Loop: Header=BB9_7 Depth=1
	s_mov_b32 s20, 0
.LBB9_10:                               ;   Parent Loop BB9_7 Depth=1
                                        ; =>  This Inner Loop Header: Depth=2
	global_load_b32 v16, v[10:11], off glc
	s_waitcnt vmcnt(0)
	v_cmp_ne_u32_e32 vcc_lo, 0, v16
	s_or_b32 s20, vcc_lo, s20
	s_delay_alu instid0(SALU_CYCLE_1)
	s_and_not1_b32 exec_lo, exec_lo, s20
	s_cbranch_execnz .LBB9_10
; %bb.11:                               ;   in Loop: Header=BB9_7 Depth=1
	s_or_b32 exec_lo, exec_lo, s20
	s_branch .LBB9_5
.LBB9_12:
	s_or_b32 exec_lo, exec_lo, s14
	s_delay_alu instid0(SALU_CYCLE_1)
	s_and_b32 s14, s15, exec_lo
.LBB9_13:
	s_or_b32 exec_lo, exec_lo, s13
	s_and_saveexec_b32 s0, s14
	s_cbranch_execz .LBB9_22
; %bb.14:
	s_mov_b32 s1, exec_lo
	v_cmpx_eq_u32_e64 v9, v1
	s_cbranch_execz .LBB9_16
; %bb.15:
	v_add_co_u32 v10, vcc_lo, s8, v3
	v_add_co_ci_u32_e32 v11, vcc_lo, s9, v4, vcc_lo
	global_store_b64 v[10:11], v[7:8], off
.LBB9_16:
	s_or_b32 exec_lo, exec_lo, s1
	s_delay_alu instid0(SALU_CYCLE_1)
	s_mov_b32 s1, exec_lo
	v_cmpx_lt_i32_e64 v9, v1
	s_cbranch_execz .LBB9_21
; %bb.17:
	v_subrev_nc_u32_e32 v7, s12, v9
	s_mov_b32 s13, 0
	s_mov_b32 s12, exec_lo
	s_delay_alu instid0(VALU_DEP_1)
	v_lshlrev_b32_e32 v8, 2, v7
	ds_load_b32 v7, v8
	s_waitcnt lgkmcnt(0)
	v_cmpx_eq_u32_e32 0, v7
	s_cbranch_execz .LBB9_20
.LBB9_18:                               ; =>This Inner Loop Header: Depth=1
	ds_load_b32 v7, v8
	s_waitcnt lgkmcnt(0)
	v_cmp_ne_u32_e32 vcc_lo, 0, v7
	s_or_b32 s13, vcc_lo, s13
	s_delay_alu instid0(SALU_CYCLE_1)
	s_and_not1_b32 exec_lo, exec_lo, s13
	s_cbranch_execnz .LBB9_18
; %bb.19:
	s_or_b32 exec_lo, exec_lo, s13
.LBB9_20:
	s_delay_alu instid0(SALU_CYCLE_1)
	s_or_b32 exec_lo, exec_lo, s12
	v_max_i32_e32 v15, v7, v15
.LBB9_21:
	s_or_b32 exec_lo, exec_lo, s1
.LBB9_22:
	s_delay_alu instid0(SALU_CYCLE_1)
	s_or_b32 exec_lo, exec_lo, s0
	v_mbcnt_lo_u32_b32 v7, -1, 0
	s_waitcnt_vscnt null, 0x0
	buffer_gl0_inv
	v_xor_b32_e32 v8, 16, v7
	v_xor_b32_e32 v9, 8, v7
	;; [unrolled: 1-line block ×3, first 2 shown]
	s_delay_alu instid0(VALU_DEP_3) | instskip(SKIP_1) | instid1(VALU_DEP_4)
	v_cmp_gt_i32_e32 vcc_lo, 32, v8
	v_cndmask_b32_e32 v8, v7, v8, vcc_lo
	v_cmp_gt_i32_e32 vcc_lo, 32, v9
	v_cndmask_b32_e32 v9, v7, v9, vcc_lo
	;; [unrolled: 2-line block ×3, first 2 shown]
	s_delay_alu instid0(VALU_DEP_1) | instskip(NEXT) | instid1(VALU_DEP_4)
	v_lshlrev_b32_e32 v10, 2, v10
	v_lshlrev_b32_e32 v9, 2, v9
	;; [unrolled: 1-line block ×3, first 2 shown]
	ds_bpermute_b32 v8, v8, v15
	s_waitcnt lgkmcnt(0)
	v_max_i32_e32 v8, v15, v8
	ds_bpermute_b32 v9, v9, v8
	s_waitcnt lgkmcnt(0)
	v_max_i32_e32 v8, v8, v9
	ds_bpermute_b32 v9, v10, v8
	v_xor_b32_e32 v10, 2, v7
	s_delay_alu instid0(VALU_DEP_1) | instskip(SKIP_1) | instid1(VALU_DEP_1)
	v_cmp_gt_i32_e32 vcc_lo, 32, v10
	v_cndmask_b32_e32 v10, v7, v10, vcc_lo
	v_lshlrev_b32_e32 v10, 2, v10
	s_waitcnt lgkmcnt(0)
	v_max_i32_e32 v8, v8, v9
	ds_bpermute_b32 v9, v10, v8
	v_xor_b32_e32 v10, 1, v7
	s_delay_alu instid0(VALU_DEP_1) | instskip(SKIP_4) | instid1(VALU_DEP_3)
	v_cmp_gt_i32_e32 vcc_lo, 32, v10
	v_cndmask_b32_e32 v10, v7, v10, vcc_lo
	v_cmp_eq_u32_e32 vcc_lo, 31, v0
	s_waitcnt lgkmcnt(0)
	v_max_i32_e32 v7, v8, v9
	v_lshlrev_b32_e32 v8, 2, v10
	ds_bpermute_b32 v8, v8, v7
	s_and_b32 exec_lo, exec_lo, vcc_lo
	s_cbranch_execz .LBB9_32
; %bb.23:
	s_waitcnt lgkmcnt(0)
	v_max_i32_e32 v0, v7, v8
	v_lshlrev_b64 v[7:8], 2, v[1:2]
	s_mov_b32 s12, exec_lo
	s_mov_b64 s[0:1], 0
	s_delay_alu instid0(VALU_DEP_2) | instskip(NEXT) | instid1(VALU_DEP_2)
	v_add_nc_u32_e32 v9, 1, v0
	v_add_co_u32 v7, vcc_lo, s10, v7
	s_delay_alu instid0(VALU_DEP_3)
	v_add_co_ci_u32_e32 v8, vcc_lo, s11, v8, vcc_lo
	v_sub_co_u32 v0, vcc_lo, v5, v13
	v_sub_co_ci_u32_e32 v2, vcc_lo, v6, v14, vcc_lo
	ds_store_b32 v12, v9
	global_store_b32 v[7:8], v9, off
.LBB9_24:                               ; =>This Inner Loop Header: Depth=1
	s_ctz_i32_b32 s13, s12
	s_delay_alu instid0(SALU_CYCLE_1) | instskip(SKIP_1) | instid1(VALU_DEP_1)
	v_readlane_b32 s11, v2, s13
	v_readlane_b32 s10, v0, s13
	v_cmp_gt_u64_e64 s14, s[0:1], s[10:11]
	s_delay_alu instid0(VALU_DEP_1) | instskip(SKIP_3) | instid1(SALU_CYCLE_1)
	s_and_b32 s14, s14, exec_lo
	s_cselect_b32 s1, s1, s11
	s_cselect_b32 s0, s0, s10
	s_lshl_b32 s10, 1, s13
	s_and_not1_b32 s12, s12, s10
	s_delay_alu instid0(SALU_CYCLE_1)
	s_cmp_lg_u32 s12, 0
	s_cbranch_scc1 .LBB9_24
; %bb.25:
	v_mbcnt_lo_u32_b32 v0, exec_lo, 0
	s_mov_b32 s10, exec_lo
	s_delay_alu instid0(VALU_DEP_1)
	v_cmpx_eq_u32_e32 0, v0
	s_xor_b32 s10, exec_lo, s10
	s_cbranch_execz .LBB9_27
; %bb.26:
	v_mov_b32_e32 v6, s1
	v_dual_mov_b32 v0, 0 :: v_dual_mov_b32 v5, s0
	global_atomic_max_u64 v0, v[5:6], s[4:5]
.LBB9_27:
	s_or_b32 exec_lo, exec_lo, s10
	v_add_co_u32 v2, vcc_lo, s8, v3
	v_add_co_ci_u32_e32 v3, vcc_lo, s9, v4, vcc_lo
	s_cmp_eq_u32 s3, 0
	s_cselect_b32 s0, -1, 0
	global_load_b64 v[2:3], v[2:3], off
	s_waitcnt vmcnt(0)
	v_cmp_eq_u64_e32 vcc_lo, -1, v[2:3]
	s_and_b32 s0, s0, vcc_lo
	s_delay_alu instid0(SALU_CYCLE_1)
	s_and_b32 exec_lo, exec_lo, s0
	s_cbranch_execz .LBB9_32
; %bb.28:
	v_add_nc_u32_e32 v0, s2, v1
	s_mov_b32 s1, exec_lo
	s_brev_b32 s0, -2
.LBB9_29:                               ; =>This Inner Loop Header: Depth=1
	s_ctz_i32_b32 s2, s1
	s_delay_alu instid0(VALU_DEP_1) | instid1(SALU_CYCLE_1)
	v_readlane_b32 s3, v0, s2
	s_lshl_b32 s2, 1, s2
	s_delay_alu instid0(SALU_CYCLE_1) | instskip(NEXT) | instid1(VALU_DEP_1)
	s_and_not1_b32 s1, s1, s2
	s_min_i32 s0, s0, s3
	s_cmp_lg_u32 s1, 0
	s_cbranch_scc1 .LBB9_29
; %bb.30:
	v_mbcnt_lo_u32_b32 v0, exec_lo, 0
	s_mov_b32 s1, exec_lo
	s_delay_alu instid0(VALU_DEP_1)
	v_cmpx_eq_u32_e32 0, v0
	s_xor_b32 s1, exec_lo, s1
	s_cbranch_execz .LBB9_32
; %bb.31:
	v_dual_mov_b32 v0, 0 :: v_dual_mov_b32 v1, s0
	global_atomic_min_i32 v0, v1, s[6:7]
.LBB9_32:
	s_nop 0
	s_sendmsg sendmsg(MSG_DEALLOC_VGPRS)
	s_endpgm
	.section	.rodata,"a",@progbits
	.p2align	6, 0x0
	.amdhsa_kernel _ZN9rocsparseL27csrsv_analysis_lower_kernelILj1024ELj32ELb0EliEEvT3_PKT2_PKS1_PS2_PiS7_PS1_21rocsparse_index_base_20rocsparse_diag_type_
		.amdhsa_group_segment_fixed_size 128
		.amdhsa_private_segment_fixed_size 0
		.amdhsa_kernarg_size 64
		.amdhsa_user_sgpr_count 15
		.amdhsa_user_sgpr_dispatch_ptr 0
		.amdhsa_user_sgpr_queue_ptr 0
		.amdhsa_user_sgpr_kernarg_segment_ptr 1
		.amdhsa_user_sgpr_dispatch_id 0
		.amdhsa_user_sgpr_private_segment_size 0
		.amdhsa_wavefront_size32 1
		.amdhsa_uses_dynamic_stack 0
		.amdhsa_enable_private_segment 0
		.amdhsa_system_sgpr_workgroup_id_x 1
		.amdhsa_system_sgpr_workgroup_id_y 0
		.amdhsa_system_sgpr_workgroup_id_z 0
		.amdhsa_system_sgpr_workgroup_info 0
		.amdhsa_system_vgpr_workitem_id 0
		.amdhsa_next_free_vgpr 17
		.amdhsa_next_free_sgpr 21
		.amdhsa_reserve_vcc 1
		.amdhsa_float_round_mode_32 0
		.amdhsa_float_round_mode_16_64 0
		.amdhsa_float_denorm_mode_32 3
		.amdhsa_float_denorm_mode_16_64 3
		.amdhsa_dx10_clamp 1
		.amdhsa_ieee_mode 1
		.amdhsa_fp16_overflow 0
		.amdhsa_workgroup_processor_mode 1
		.amdhsa_memory_ordered 1
		.amdhsa_forward_progress 0
		.amdhsa_shared_vgpr_count 0
		.amdhsa_exception_fp_ieee_invalid_op 0
		.amdhsa_exception_fp_denorm_src 0
		.amdhsa_exception_fp_ieee_div_zero 0
		.amdhsa_exception_fp_ieee_overflow 0
		.amdhsa_exception_fp_ieee_underflow 0
		.amdhsa_exception_fp_ieee_inexact 0
		.amdhsa_exception_int_div_zero 0
	.end_amdhsa_kernel
	.section	.text._ZN9rocsparseL27csrsv_analysis_lower_kernelILj1024ELj32ELb0EliEEvT3_PKT2_PKS1_PS2_PiS7_PS1_21rocsparse_index_base_20rocsparse_diag_type_,"axG",@progbits,_ZN9rocsparseL27csrsv_analysis_lower_kernelILj1024ELj32ELb0EliEEvT3_PKT2_PKS1_PS2_PiS7_PS1_21rocsparse_index_base_20rocsparse_diag_type_,comdat
.Lfunc_end9:
	.size	_ZN9rocsparseL27csrsv_analysis_lower_kernelILj1024ELj32ELb0EliEEvT3_PKT2_PKS1_PS2_PiS7_PS1_21rocsparse_index_base_20rocsparse_diag_type_, .Lfunc_end9-_ZN9rocsparseL27csrsv_analysis_lower_kernelILj1024ELj32ELb0EliEEvT3_PKT2_PKS1_PS2_PiS7_PS1_21rocsparse_index_base_20rocsparse_diag_type_
                                        ; -- End function
	.section	.AMDGPU.csdata,"",@progbits
; Kernel info:
; codeLenInByte = 1292
; NumSgprs: 23
; NumVgprs: 17
; ScratchSize: 0
; MemoryBound: 0
; FloatMode: 240
; IeeeMode: 1
; LDSByteSize: 128 bytes/workgroup (compile time only)
; SGPRBlocks: 2
; VGPRBlocks: 2
; NumSGPRsForWavesPerEU: 23
; NumVGPRsForWavesPerEU: 17
; Occupancy: 16
; WaveLimiterHint : 1
; COMPUTE_PGM_RSRC2:SCRATCH_EN: 0
; COMPUTE_PGM_RSRC2:USER_SGPR: 15
; COMPUTE_PGM_RSRC2:TRAP_HANDLER: 0
; COMPUTE_PGM_RSRC2:TGID_X_EN: 1
; COMPUTE_PGM_RSRC2:TGID_Y_EN: 0
; COMPUTE_PGM_RSRC2:TGID_Z_EN: 0
; COMPUTE_PGM_RSRC2:TIDIG_COMP_CNT: 0
	.section	.text._ZN9rocsparseL27csrsv_analysis_upper_kernelILj1024ELj64ELb0EliEEvT3_PKT2_PKS1_PS2_PiS7_PS1_21rocsparse_index_base_20rocsparse_diag_type_,"axG",@progbits,_ZN9rocsparseL27csrsv_analysis_upper_kernelILj1024ELj64ELb0EliEEvT3_PKT2_PKS1_PS2_PiS7_PS1_21rocsparse_index_base_20rocsparse_diag_type_,comdat
	.globl	_ZN9rocsparseL27csrsv_analysis_upper_kernelILj1024ELj64ELb0EliEEvT3_PKT2_PKS1_PS2_PiS7_PS1_21rocsparse_index_base_20rocsparse_diag_type_ ; -- Begin function _ZN9rocsparseL27csrsv_analysis_upper_kernelILj1024ELj64ELb0EliEEvT3_PKT2_PKS1_PS2_PiS7_PS1_21rocsparse_index_base_20rocsparse_diag_type_
	.p2align	8
	.type	_ZN9rocsparseL27csrsv_analysis_upper_kernelILj1024ELj64ELb0EliEEvT3_PKT2_PKS1_PS2_PiS7_PS1_21rocsparse_index_base_20rocsparse_diag_type_,@function
_ZN9rocsparseL27csrsv_analysis_upper_kernelILj1024ELj64ELb0EliEEvT3_PKT2_PKS1_PS2_PiS7_PS1_21rocsparse_index_base_20rocsparse_diag_type_: ; @_ZN9rocsparseL27csrsv_analysis_upper_kernelILj1024ELj64ELb0EliEEvT3_PKT2_PKS1_PS2_PiS7_PS1_21rocsparse_index_base_20rocsparse_diag_type_
; %bb.0:
	s_load_b32 s2, s[0:1], 0x0
	s_lshl_b32 s3, s15, 4
	v_lshrrev_b32_e32 v2, 6, v0
	s_not_b32 s12, s3
	s_delay_alu instid0(VALU_DEP_1)
	v_lshlrev_b32_e32 v12, 2, v2
	s_waitcnt lgkmcnt(0)
	s_add_i32 s12, s12, s2
	s_mov_b32 s2, exec_lo
	v_sub_nc_u32_e32 v1, s12, v2
	v_mov_b32_e32 v2, 0
	ds_store_b32 v12, v2
	s_waitcnt lgkmcnt(0)
	s_barrier
	buffer_gl0_inv
	v_cmpx_lt_i32_e32 -1, v1
	s_cbranch_execz .LBB10_32
; %bb.1:
	s_clause 0x1
	s_load_b64 s[2:3], s[0:1], 0x8
	s_load_b128 s[8:11], s[0:1], 0x18
	v_lshlrev_b64 v[3:4], 3, v[1:2]
	v_and_b32_e32 v0, 63, v0
	s_mov_b32 s4, exec_lo
	s_delay_alu instid0(VALU_DEP_1)
	v_cmpx_eq_u32_e32 0, v0
	s_cbranch_execz .LBB10_3
; %bb.2:
	v_mov_b32_e32 v5, -1
	s_waitcnt lgkmcnt(0)
	v_add_co_u32 v7, vcc_lo, s8, v3
	v_add_co_ci_u32_e32 v8, vcc_lo, s9, v4, vcc_lo
	s_delay_alu instid0(VALU_DEP_3)
	v_mov_b32_e32 v6, v5
	global_store_b64 v[7:8], v[5:6], off
.LBB10_3:
	s_or_b32 exec_lo, exec_lo, s4
	s_waitcnt lgkmcnt(0)
	v_add_co_u32 v5, vcc_lo, s2, v3
	v_add_co_ci_u32_e32 v6, vcc_lo, s3, v4, vcc_lo
	s_clause 0x1
	s_load_b64 s[2:3], s[0:1], 0x38
	s_load_b128 s[4:7], s[0:1], 0x28
	v_not_b32_e32 v9, v0
	global_load_b128 v[5:8], v[5:6], off
	v_mov_b32_e32 v15, 0
	s_mov_b32 s14, -1
	s_mov_b32 s13, exec_lo
	v_ashrrev_i32_e32 v10, 31, v9
	s_waitcnt vmcnt(0) lgkmcnt(0)
	v_sub_co_u32 v13, vcc_lo, v7, s2
	v_subrev_co_ci_u32_e32 v14, vcc_lo, 0, v8, vcc_lo
	v_sub_co_u32 v5, vcc_lo, v5, s2
	v_subrev_co_ci_u32_e32 v6, vcc_lo, 0, v6, vcc_lo
	s_delay_alu instid0(VALU_DEP_4) | instskip(NEXT) | instid1(VALU_DEP_4)
	v_add_co_u32 v7, vcc_lo, v13, v9
	v_add_co_ci_u32_e32 v8, vcc_lo, v14, v10, vcc_lo
	v_mov_b32_e32 v9, -1
	s_delay_alu instid0(VALU_DEP_2)
	v_cmpx_ge_i64_e64 v[7:8], v[5:6]
	s_cbranch_execz .LBB10_13
; %bb.4:
	s_load_b64 s[0:1], s[0:1], 0x10
	v_mov_b32_e32 v15, 0
	s_mov_b32 s14, 0
                                        ; implicit-def: $sgpr15
                                        ; implicit-def: $sgpr17
                                        ; implicit-def: $sgpr16
	s_branch .LBB10_7
.LBB10_5:                               ;   in Loop: Header=BB10_7 Depth=1
	s_or_b32 exec_lo, exec_lo, s19
	v_add_co_u32 v7, vcc_lo, 0xffffffc0, v7
	v_add_co_ci_u32_e32 v8, vcc_lo, -1, v8, vcc_lo
	v_max_i32_e32 v15, v16, v15
	s_and_not1_b32 s17, s17, exec_lo
	s_or_b32 s16, s16, exec_lo
	s_delay_alu instid0(VALU_DEP_2) | instskip(SKIP_1) | instid1(SALU_CYCLE_1)
	v_cmp_lt_i64_e32 vcc_lo, v[7:8], v[5:6]
	s_and_b32 s19, vcc_lo, exec_lo
	s_or_b32 s17, s17, s19
.LBB10_6:                               ;   in Loop: Header=BB10_7 Depth=1
	s_or_b32 exec_lo, exec_lo, s18
	s_delay_alu instid0(SALU_CYCLE_1) | instskip(NEXT) | instid1(SALU_CYCLE_1)
	s_and_b32 s18, exec_lo, s17
	s_or_b32 s14, s18, s14
	s_and_not1_b32 s15, s15, exec_lo
	s_and_b32 s18, s16, exec_lo
	s_delay_alu instid0(SALU_CYCLE_1)
	s_or_b32 s15, s15, s18
	s_and_not1_b32 exec_lo, exec_lo, s14
	s_cbranch_execz .LBB10_12
.LBB10_7:                               ; =>This Loop Header: Depth=1
                                        ;     Child Loop BB10_10 Depth 2
	v_lshlrev_b64 v[9:10], 2, v[7:8]
	s_and_not1_b32 s16, s16, exec_lo
	s_or_b32 s17, s17, exec_lo
	s_mov_b32 s18, exec_lo
	s_waitcnt lgkmcnt(0)
	s_delay_alu instid0(VALU_DEP_1) | instskip(SKIP_4) | instid1(VALU_DEP_1)
	v_add_co_u32 v9, vcc_lo, s0, v9
	v_add_co_ci_u32_e32 v10, vcc_lo, s1, v10, vcc_lo
	global_load_b32 v9, v[9:10], off slc dlc
	s_waitcnt vmcnt(0)
	v_subrev_nc_u32_e32 v9, s2, v9
	v_cmpx_lt_i32_e64 s12, v9
	s_cbranch_execz .LBB10_6
; %bb.8:                                ;   in Loop: Header=BB10_7 Depth=1
	v_ashrrev_i32_e32 v10, 31, v9
	s_mov_b32 s19, exec_lo
	s_delay_alu instid0(VALU_DEP_1) | instskip(NEXT) | instid1(VALU_DEP_1)
	v_lshlrev_b64 v[10:11], 2, v[9:10]
	v_add_co_u32 v10, vcc_lo, s10, v10
	s_delay_alu instid0(VALU_DEP_2)
	v_add_co_ci_u32_e32 v11, vcc_lo, s11, v11, vcc_lo
	global_load_b32 v16, v[10:11], off glc
	s_waitcnt vmcnt(0)
	v_cmpx_eq_u32_e32 0, v16
	s_cbranch_execz .LBB10_5
; %bb.9:                                ;   in Loop: Header=BB10_7 Depth=1
	s_mov_b32 s20, 0
.LBB10_10:                              ;   Parent Loop BB10_7 Depth=1
                                        ; =>  This Inner Loop Header: Depth=2
	global_load_b32 v16, v[10:11], off glc
	s_waitcnt vmcnt(0)
	v_cmp_ne_u32_e32 vcc_lo, 0, v16
	s_or_b32 s20, vcc_lo, s20
	s_delay_alu instid0(SALU_CYCLE_1)
	s_and_not1_b32 exec_lo, exec_lo, s20
	s_cbranch_execnz .LBB10_10
; %bb.11:                               ;   in Loop: Header=BB10_7 Depth=1
	s_or_b32 exec_lo, exec_lo, s20
	s_branch .LBB10_5
.LBB10_12:
	s_or_b32 exec_lo, exec_lo, s14
	s_delay_alu instid0(SALU_CYCLE_1)
	s_or_not1_b32 s14, s15, exec_lo
.LBB10_13:
	s_or_b32 exec_lo, exec_lo, s13
	s_xor_b32 s1, s14, -1
	s_delay_alu instid0(SALU_CYCLE_1)
	s_and_saveexec_b32 s0, s1
	s_cbranch_execz .LBB10_22
; %bb.14:
	s_mov_b32 s1, exec_lo
	v_cmpx_eq_u32_e64 v9, v1
	s_cbranch_execz .LBB10_16
; %bb.15:
	v_add_co_u32 v10, vcc_lo, s8, v3
	v_add_co_ci_u32_e32 v11, vcc_lo, s9, v4, vcc_lo
	global_store_b64 v[10:11], v[7:8], off
.LBB10_16:
	s_or_b32 exec_lo, exec_lo, s1
	s_delay_alu instid0(SALU_CYCLE_1)
	s_mov_b32 s1, exec_lo
	v_cmpx_gt_i32_e64 v9, v1
	s_cbranch_execz .LBB10_21
; %bb.17:
	v_sub_nc_u32_e32 v7, s12, v9
	s_mov_b32 s13, 0
	s_mov_b32 s12, exec_lo
	s_delay_alu instid0(VALU_DEP_1)
	v_lshlrev_b32_e32 v8, 2, v7
	ds_load_b32 v7, v8
	s_waitcnt lgkmcnt(0)
	v_cmpx_eq_u32_e32 0, v7
	s_cbranch_execz .LBB10_20
.LBB10_18:                              ; =>This Inner Loop Header: Depth=1
	ds_load_b32 v7, v8
	s_waitcnt lgkmcnt(0)
	v_cmp_ne_u32_e32 vcc_lo, 0, v7
	s_or_b32 s13, vcc_lo, s13
	s_delay_alu instid0(SALU_CYCLE_1)
	s_and_not1_b32 exec_lo, exec_lo, s13
	s_cbranch_execnz .LBB10_18
; %bb.19:
	s_or_b32 exec_lo, exec_lo, s13
.LBB10_20:
	s_delay_alu instid0(SALU_CYCLE_1)
	s_or_b32 exec_lo, exec_lo, s12
	v_max_i32_e32 v15, v7, v15
.LBB10_21:
	s_or_b32 exec_lo, exec_lo, s1
.LBB10_22:
	s_delay_alu instid0(SALU_CYCLE_1)
	s_or_b32 exec_lo, exec_lo, s0
	v_mbcnt_lo_u32_b32 v7, -1, 0
	s_waitcnt_vscnt null, 0x0
	buffer_gl0_inv
	v_or_b32_e32 v8, 32, v7
	v_xor_b32_e32 v9, 16, v7
	v_xor_b32_e32 v10, 8, v7
	s_delay_alu instid0(VALU_DEP_3) | instskip(SKIP_1) | instid1(VALU_DEP_4)
	v_cmp_gt_i32_e32 vcc_lo, 32, v8
	v_cndmask_b32_e32 v8, v7, v8, vcc_lo
	v_cmp_gt_i32_e32 vcc_lo, 32, v9
	v_cndmask_b32_e32 v9, v7, v9, vcc_lo
	;; [unrolled: 2-line block ×3, first 2 shown]
	s_delay_alu instid0(VALU_DEP_1) | instskip(NEXT) | instid1(VALU_DEP_4)
	v_lshlrev_b32_e32 v10, 2, v10
	v_lshlrev_b32_e32 v9, 2, v9
	;; [unrolled: 1-line block ×3, first 2 shown]
	ds_bpermute_b32 v8, v8, v15
	s_waitcnt lgkmcnt(0)
	v_max_i32_e32 v8, v15, v8
	ds_bpermute_b32 v9, v9, v8
	s_waitcnt lgkmcnt(0)
	v_max_i32_e32 v8, v8, v9
	ds_bpermute_b32 v9, v10, v8
	v_xor_b32_e32 v10, 4, v7
	s_delay_alu instid0(VALU_DEP_1) | instskip(SKIP_1) | instid1(VALU_DEP_1)
	v_cmp_gt_i32_e32 vcc_lo, 32, v10
	v_cndmask_b32_e32 v10, v7, v10, vcc_lo
	v_lshlrev_b32_e32 v10, 2, v10
	s_waitcnt lgkmcnt(0)
	v_max_i32_e32 v8, v8, v9
	ds_bpermute_b32 v9, v10, v8
	v_xor_b32_e32 v10, 2, v7
	s_delay_alu instid0(VALU_DEP_1) | instskip(SKIP_1) | instid1(VALU_DEP_1)
	v_cmp_gt_i32_e32 vcc_lo, 32, v10
	v_cndmask_b32_e32 v10, v7, v10, vcc_lo
	v_lshlrev_b32_e32 v10, 2, v10
	s_waitcnt lgkmcnt(0)
	v_max_i32_e32 v8, v8, v9
	ds_bpermute_b32 v9, v10, v8
	v_xor_b32_e32 v10, 1, v7
	s_delay_alu instid0(VALU_DEP_1) | instskip(SKIP_4) | instid1(VALU_DEP_3)
	v_cmp_gt_i32_e32 vcc_lo, 32, v10
	v_cndmask_b32_e32 v10, v7, v10, vcc_lo
	v_cmp_eq_u32_e32 vcc_lo, 63, v0
	s_waitcnt lgkmcnt(0)
	v_max_i32_e32 v7, v8, v9
	v_lshlrev_b32_e32 v8, 2, v10
	ds_bpermute_b32 v8, v8, v7
	s_and_b32 exec_lo, exec_lo, vcc_lo
	s_cbranch_execz .LBB10_32
; %bb.23:
	s_waitcnt lgkmcnt(0)
	v_max_i32_e32 v0, v7, v8
	v_lshlrev_b64 v[7:8], 2, v[1:2]
	s_mov_b32 s12, exec_lo
	s_mov_b64 s[0:1], 0
	s_delay_alu instid0(VALU_DEP_2) | instskip(NEXT) | instid1(VALU_DEP_2)
	v_add_nc_u32_e32 v9, 1, v0
	v_add_co_u32 v7, vcc_lo, s10, v7
	s_delay_alu instid0(VALU_DEP_3)
	v_add_co_ci_u32_e32 v8, vcc_lo, s11, v8, vcc_lo
	v_sub_co_u32 v0, vcc_lo, v13, v5
	v_sub_co_ci_u32_e32 v2, vcc_lo, v14, v6, vcc_lo
	ds_store_b32 v12, v9
	global_store_b32 v[7:8], v9, off
.LBB10_24:                              ; =>This Inner Loop Header: Depth=1
	s_ctz_i32_b32 s13, s12
	s_delay_alu instid0(SALU_CYCLE_1) | instskip(SKIP_1) | instid1(VALU_DEP_1)
	v_readlane_b32 s11, v2, s13
	v_readlane_b32 s10, v0, s13
	v_cmp_gt_u64_e64 s14, s[0:1], s[10:11]
	s_delay_alu instid0(VALU_DEP_1) | instskip(SKIP_3) | instid1(SALU_CYCLE_1)
	s_and_b32 s14, s14, exec_lo
	s_cselect_b32 s1, s1, s11
	s_cselect_b32 s0, s0, s10
	s_lshl_b32 s10, 1, s13
	s_and_not1_b32 s12, s12, s10
	s_delay_alu instid0(SALU_CYCLE_1)
	s_cmp_lg_u32 s12, 0
	s_cbranch_scc1 .LBB10_24
; %bb.25:
	v_mbcnt_lo_u32_b32 v0, exec_lo, 0
	s_mov_b32 s10, exec_lo
	s_delay_alu instid0(VALU_DEP_1)
	v_cmpx_eq_u32_e32 0, v0
	s_xor_b32 s10, exec_lo, s10
	s_cbranch_execz .LBB10_27
; %bb.26:
	v_mov_b32_e32 v6, s1
	v_dual_mov_b32 v0, 0 :: v_dual_mov_b32 v5, s0
	global_atomic_max_u64 v0, v[5:6], s[4:5]
.LBB10_27:
	s_or_b32 exec_lo, exec_lo, s10
	v_add_co_u32 v2, vcc_lo, s8, v3
	v_add_co_ci_u32_e32 v3, vcc_lo, s9, v4, vcc_lo
	s_cmp_eq_u32 s3, 0
	s_cselect_b32 s0, -1, 0
	global_load_b64 v[2:3], v[2:3], off
	s_waitcnt vmcnt(0)
	v_cmp_eq_u64_e32 vcc_lo, -1, v[2:3]
	s_and_b32 s0, s0, vcc_lo
	s_delay_alu instid0(SALU_CYCLE_1)
	s_and_b32 exec_lo, exec_lo, s0
	s_cbranch_execz .LBB10_32
; %bb.28:
	v_add_nc_u32_e32 v0, s2, v1
	s_mov_b32 s1, exec_lo
	s_brev_b32 s0, -2
.LBB10_29:                              ; =>This Inner Loop Header: Depth=1
	s_ctz_i32_b32 s2, s1
	s_delay_alu instid0(VALU_DEP_1) | instid1(SALU_CYCLE_1)
	v_readlane_b32 s3, v0, s2
	s_lshl_b32 s2, 1, s2
	s_delay_alu instid0(SALU_CYCLE_1) | instskip(NEXT) | instid1(VALU_DEP_1)
	s_and_not1_b32 s1, s1, s2
	s_min_i32 s0, s0, s3
	s_cmp_lg_u32 s1, 0
	s_cbranch_scc1 .LBB10_29
; %bb.30:
	v_mbcnt_lo_u32_b32 v0, exec_lo, 0
	s_mov_b32 s1, exec_lo
	s_delay_alu instid0(VALU_DEP_1)
	v_cmpx_eq_u32_e32 0, v0
	s_xor_b32 s1, exec_lo, s1
	s_cbranch_execz .LBB10_32
; %bb.31:
	v_dual_mov_b32 v0, 0 :: v_dual_mov_b32 v1, s0
	global_atomic_min_i32 v0, v1, s[6:7]
.LBB10_32:
	s_nop 0
	s_sendmsg sendmsg(MSG_DEALLOC_VGPRS)
	s_endpgm
	.section	.rodata,"a",@progbits
	.p2align	6, 0x0
	.amdhsa_kernel _ZN9rocsparseL27csrsv_analysis_upper_kernelILj1024ELj64ELb0EliEEvT3_PKT2_PKS1_PS2_PiS7_PS1_21rocsparse_index_base_20rocsparse_diag_type_
		.amdhsa_group_segment_fixed_size 64
		.amdhsa_private_segment_fixed_size 0
		.amdhsa_kernarg_size 64
		.amdhsa_user_sgpr_count 15
		.amdhsa_user_sgpr_dispatch_ptr 0
		.amdhsa_user_sgpr_queue_ptr 0
		.amdhsa_user_sgpr_kernarg_segment_ptr 1
		.amdhsa_user_sgpr_dispatch_id 0
		.amdhsa_user_sgpr_private_segment_size 0
		.amdhsa_wavefront_size32 1
		.amdhsa_uses_dynamic_stack 0
		.amdhsa_enable_private_segment 0
		.amdhsa_system_sgpr_workgroup_id_x 1
		.amdhsa_system_sgpr_workgroup_id_y 0
		.amdhsa_system_sgpr_workgroup_id_z 0
		.amdhsa_system_sgpr_workgroup_info 0
		.amdhsa_system_vgpr_workitem_id 0
		.amdhsa_next_free_vgpr 17
		.amdhsa_next_free_sgpr 21
		.amdhsa_reserve_vcc 1
		.amdhsa_float_round_mode_32 0
		.amdhsa_float_round_mode_16_64 0
		.amdhsa_float_denorm_mode_32 3
		.amdhsa_float_denorm_mode_16_64 3
		.amdhsa_dx10_clamp 1
		.amdhsa_ieee_mode 1
		.amdhsa_fp16_overflow 0
		.amdhsa_workgroup_processor_mode 1
		.amdhsa_memory_ordered 1
		.amdhsa_forward_progress 0
		.amdhsa_shared_vgpr_count 0
		.amdhsa_exception_fp_ieee_invalid_op 0
		.amdhsa_exception_fp_denorm_src 0
		.amdhsa_exception_fp_ieee_div_zero 0
		.amdhsa_exception_fp_ieee_overflow 0
		.amdhsa_exception_fp_ieee_underflow 0
		.amdhsa_exception_fp_ieee_inexact 0
		.amdhsa_exception_int_div_zero 0
	.end_amdhsa_kernel
	.section	.text._ZN9rocsparseL27csrsv_analysis_upper_kernelILj1024ELj64ELb0EliEEvT3_PKT2_PKS1_PS2_PiS7_PS1_21rocsparse_index_base_20rocsparse_diag_type_,"axG",@progbits,_ZN9rocsparseL27csrsv_analysis_upper_kernelILj1024ELj64ELb0EliEEvT3_PKT2_PKS1_PS2_PiS7_PS1_21rocsparse_index_base_20rocsparse_diag_type_,comdat
.Lfunc_end10:
	.size	_ZN9rocsparseL27csrsv_analysis_upper_kernelILj1024ELj64ELb0EliEEvT3_PKT2_PKS1_PS2_PiS7_PS1_21rocsparse_index_base_20rocsparse_diag_type_, .Lfunc_end10-_ZN9rocsparseL27csrsv_analysis_upper_kernelILj1024ELj64ELb0EliEEvT3_PKT2_PKS1_PS2_PiS7_PS1_21rocsparse_index_base_20rocsparse_diag_type_
                                        ; -- End function
	.section	.AMDGPU.csdata,"",@progbits
; Kernel info:
; codeLenInByte = 1356
; NumSgprs: 23
; NumVgprs: 17
; ScratchSize: 0
; MemoryBound: 0
; FloatMode: 240
; IeeeMode: 1
; LDSByteSize: 64 bytes/workgroup (compile time only)
; SGPRBlocks: 2
; VGPRBlocks: 2
; NumSGPRsForWavesPerEU: 23
; NumVGPRsForWavesPerEU: 17
; Occupancy: 16
; WaveLimiterHint : 1
; COMPUTE_PGM_RSRC2:SCRATCH_EN: 0
; COMPUTE_PGM_RSRC2:USER_SGPR: 15
; COMPUTE_PGM_RSRC2:TRAP_HANDLER: 0
; COMPUTE_PGM_RSRC2:TGID_X_EN: 1
; COMPUTE_PGM_RSRC2:TGID_Y_EN: 0
; COMPUTE_PGM_RSRC2:TGID_Z_EN: 0
; COMPUTE_PGM_RSRC2:TIDIG_COMP_CNT: 0
	.section	.text._ZN9rocsparseL27csrsv_analysis_lower_kernelILj1024ELj64ELb0EliEEvT3_PKT2_PKS1_PS2_PiS7_PS1_21rocsparse_index_base_20rocsparse_diag_type_,"axG",@progbits,_ZN9rocsparseL27csrsv_analysis_lower_kernelILj1024ELj64ELb0EliEEvT3_PKT2_PKS1_PS2_PiS7_PS1_21rocsparse_index_base_20rocsparse_diag_type_,comdat
	.globl	_ZN9rocsparseL27csrsv_analysis_lower_kernelILj1024ELj64ELb0EliEEvT3_PKT2_PKS1_PS2_PiS7_PS1_21rocsparse_index_base_20rocsparse_diag_type_ ; -- Begin function _ZN9rocsparseL27csrsv_analysis_lower_kernelILj1024ELj64ELb0EliEEvT3_PKT2_PKS1_PS2_PiS7_PS1_21rocsparse_index_base_20rocsparse_diag_type_
	.p2align	8
	.type	_ZN9rocsparseL27csrsv_analysis_lower_kernelILj1024ELj64ELb0EliEEvT3_PKT2_PKS1_PS2_PiS7_PS1_21rocsparse_index_base_20rocsparse_diag_type_,@function
_ZN9rocsparseL27csrsv_analysis_lower_kernelILj1024ELj64ELb0EliEEvT3_PKT2_PKS1_PS2_PiS7_PS1_21rocsparse_index_base_20rocsparse_diag_type_: ; @_ZN9rocsparseL27csrsv_analysis_lower_kernelILj1024ELj64ELb0EliEEvT3_PKT2_PKS1_PS2_PiS7_PS1_21rocsparse_index_base_20rocsparse_diag_type_
; %bb.0:
	s_load_b32 s2, s[0:1], 0x0
	v_lshrrev_b32_e32 v2, 6, v0
	s_lshl_b32 s12, s15, 4
	s_delay_alu instid0(VALU_DEP_1) | instid1(SALU_CYCLE_1)
	v_or_b32_e32 v1, s12, v2
	v_lshlrev_b32_e32 v12, 2, v2
	v_mov_b32_e32 v2, 0
	ds_store_b32 v12, v2
	s_waitcnt lgkmcnt(0)
	s_barrier
	buffer_gl0_inv
	v_cmp_gt_i32_e32 vcc_lo, s2, v1
	s_and_saveexec_b32 s2, vcc_lo
	s_cbranch_execz .LBB11_32
; %bb.1:
	s_clause 0x1
	s_load_b64 s[2:3], s[0:1], 0x8
	s_load_b128 s[8:11], s[0:1], 0x18
	v_ashrrev_i32_e32 v2, 31, v1
	v_and_b32_e32 v0, 63, v0
	s_mov_b32 s14, 0
	s_mov_b32 s4, exec_lo
	s_delay_alu instid0(VALU_DEP_2) | instskip(NEXT) | instid1(VALU_DEP_2)
	v_lshlrev_b64 v[3:4], 3, v[1:2]
	v_cmpx_eq_u32_e32 0, v0
	s_cbranch_execz .LBB11_3
; %bb.2:
	v_mov_b32_e32 v5, -1
	s_waitcnt lgkmcnt(0)
	s_delay_alu instid0(VALU_DEP_3) | instskip(SKIP_1) | instid1(VALU_DEP_3)
	v_add_co_u32 v7, vcc_lo, s8, v3
	v_add_co_ci_u32_e32 v8, vcc_lo, s9, v4, vcc_lo
	v_mov_b32_e32 v6, v5
	global_store_b64 v[7:8], v[5:6], off
.LBB11_3:
	s_or_b32 exec_lo, exec_lo, s4
	s_waitcnt lgkmcnt(0)
	s_delay_alu instid0(VALU_DEP_2)
	v_add_co_u32 v5, vcc_lo, s2, v3
	v_add_co_ci_u32_e32 v6, vcc_lo, s3, v4, vcc_lo
	v_mov_b32_e32 v9, -1
	v_mov_b32_e32 v15, 0
	s_mov_b32 s13, exec_lo
	global_load_b128 v[5:8], v[5:6], off
	s_clause 0x1
	s_load_b64 s[2:3], s[0:1], 0x38
	s_load_b128 s[4:7], s[0:1], 0x28
	s_waitcnt vmcnt(0) lgkmcnt(0)
	v_sub_co_u32 v13, vcc_lo, v5, s2
	v_subrev_co_ci_u32_e32 v14, vcc_lo, 0, v6, vcc_lo
	v_sub_co_u32 v5, vcc_lo, v7, s2
	v_subrev_co_ci_u32_e32 v6, vcc_lo, 0, v8, vcc_lo
	s_delay_alu instid0(VALU_DEP_4) | instskip(NEXT) | instid1(VALU_DEP_4)
	v_add_co_u32 v7, vcc_lo, v13, v0
	v_add_co_ci_u32_e32 v8, vcc_lo, 0, v14, vcc_lo
	s_delay_alu instid0(VALU_DEP_1)
	v_cmpx_lt_i64_e64 v[7:8], v[5:6]
	s_cbranch_execz .LBB11_13
; %bb.4:
	s_load_b64 s[0:1], s[0:1], 0x10
	v_mov_b32_e32 v15, 0
                                        ; implicit-def: $sgpr15
                                        ; implicit-def: $sgpr17
                                        ; implicit-def: $sgpr16
	s_branch .LBB11_7
.LBB11_5:                               ;   in Loop: Header=BB11_7 Depth=1
	s_or_b32 exec_lo, exec_lo, s19
	v_add_co_u32 v7, vcc_lo, v7, 64
	v_add_co_ci_u32_e32 v8, vcc_lo, 0, v8, vcc_lo
	v_max_i32_e32 v15, v16, v15
	s_and_not1_b32 s17, s17, exec_lo
	s_and_not1_b32 s16, s16, exec_lo
	s_delay_alu instid0(VALU_DEP_2) | instskip(SKIP_1) | instid1(SALU_CYCLE_1)
	v_cmp_ge_i64_e32 vcc_lo, v[7:8], v[5:6]
	s_and_b32 s19, vcc_lo, exec_lo
	s_or_b32 s17, s17, s19
.LBB11_6:                               ;   in Loop: Header=BB11_7 Depth=1
	s_or_b32 exec_lo, exec_lo, s18
	s_delay_alu instid0(SALU_CYCLE_1) | instskip(NEXT) | instid1(SALU_CYCLE_1)
	s_and_b32 s18, exec_lo, s17
	s_or_b32 s14, s18, s14
	s_and_not1_b32 s15, s15, exec_lo
	s_and_b32 s18, s16, exec_lo
	s_delay_alu instid0(SALU_CYCLE_1)
	s_or_b32 s15, s15, s18
	s_and_not1_b32 exec_lo, exec_lo, s14
	s_cbranch_execz .LBB11_12
.LBB11_7:                               ; =>This Loop Header: Depth=1
                                        ;     Child Loop BB11_10 Depth 2
	v_lshlrev_b64 v[9:10], 2, v[7:8]
	s_or_b32 s16, s16, exec_lo
	s_or_b32 s17, s17, exec_lo
	s_mov_b32 s18, exec_lo
	s_waitcnt lgkmcnt(0)
	s_delay_alu instid0(VALU_DEP_1) | instskip(SKIP_4) | instid1(VALU_DEP_1)
	v_add_co_u32 v9, vcc_lo, s0, v9
	v_add_co_ci_u32_e32 v10, vcc_lo, s1, v10, vcc_lo
	global_load_b32 v9, v[9:10], off slc dlc
	s_waitcnt vmcnt(0)
	v_subrev_nc_u32_e32 v9, s2, v9
	v_cmpx_gt_i32_e64 s12, v9
	s_cbranch_execz .LBB11_6
; %bb.8:                                ;   in Loop: Header=BB11_7 Depth=1
	v_ashrrev_i32_e32 v10, 31, v9
	s_mov_b32 s19, exec_lo
	s_delay_alu instid0(VALU_DEP_1) | instskip(NEXT) | instid1(VALU_DEP_1)
	v_lshlrev_b64 v[10:11], 2, v[9:10]
	v_add_co_u32 v10, vcc_lo, s10, v10
	s_delay_alu instid0(VALU_DEP_2)
	v_add_co_ci_u32_e32 v11, vcc_lo, s11, v11, vcc_lo
	global_load_b32 v16, v[10:11], off glc
	s_waitcnt vmcnt(0)
	v_cmpx_eq_u32_e32 0, v16
	s_cbranch_execz .LBB11_5
; %bb.9:                                ;   in Loop: Header=BB11_7 Depth=1
	s_mov_b32 s20, 0
.LBB11_10:                              ;   Parent Loop BB11_7 Depth=1
                                        ; =>  This Inner Loop Header: Depth=2
	global_load_b32 v16, v[10:11], off glc
	s_waitcnt vmcnt(0)
	v_cmp_ne_u32_e32 vcc_lo, 0, v16
	s_or_b32 s20, vcc_lo, s20
	s_delay_alu instid0(SALU_CYCLE_1)
	s_and_not1_b32 exec_lo, exec_lo, s20
	s_cbranch_execnz .LBB11_10
; %bb.11:                               ;   in Loop: Header=BB11_7 Depth=1
	s_or_b32 exec_lo, exec_lo, s20
	s_branch .LBB11_5
.LBB11_12:
	s_or_b32 exec_lo, exec_lo, s14
	s_delay_alu instid0(SALU_CYCLE_1)
	s_and_b32 s14, s15, exec_lo
.LBB11_13:
	s_or_b32 exec_lo, exec_lo, s13
	s_and_saveexec_b32 s0, s14
	s_cbranch_execz .LBB11_22
; %bb.14:
	s_mov_b32 s1, exec_lo
	v_cmpx_eq_u32_e64 v9, v1
	s_cbranch_execz .LBB11_16
; %bb.15:
	v_add_co_u32 v10, vcc_lo, s8, v3
	v_add_co_ci_u32_e32 v11, vcc_lo, s9, v4, vcc_lo
	global_store_b64 v[10:11], v[7:8], off
.LBB11_16:
	s_or_b32 exec_lo, exec_lo, s1
	s_delay_alu instid0(SALU_CYCLE_1)
	s_mov_b32 s1, exec_lo
	v_cmpx_lt_i32_e64 v9, v1
	s_cbranch_execz .LBB11_21
; %bb.17:
	v_subrev_nc_u32_e32 v7, s12, v9
	s_mov_b32 s13, 0
	s_mov_b32 s12, exec_lo
	s_delay_alu instid0(VALU_DEP_1)
	v_lshlrev_b32_e32 v8, 2, v7
	ds_load_b32 v7, v8
	s_waitcnt lgkmcnt(0)
	v_cmpx_eq_u32_e32 0, v7
	s_cbranch_execz .LBB11_20
.LBB11_18:                              ; =>This Inner Loop Header: Depth=1
	ds_load_b32 v7, v8
	s_waitcnt lgkmcnt(0)
	v_cmp_ne_u32_e32 vcc_lo, 0, v7
	s_or_b32 s13, vcc_lo, s13
	s_delay_alu instid0(SALU_CYCLE_1)
	s_and_not1_b32 exec_lo, exec_lo, s13
	s_cbranch_execnz .LBB11_18
; %bb.19:
	s_or_b32 exec_lo, exec_lo, s13
.LBB11_20:
	s_delay_alu instid0(SALU_CYCLE_1)
	s_or_b32 exec_lo, exec_lo, s12
	v_max_i32_e32 v15, v7, v15
.LBB11_21:
	s_or_b32 exec_lo, exec_lo, s1
.LBB11_22:
	s_delay_alu instid0(SALU_CYCLE_1)
	s_or_b32 exec_lo, exec_lo, s0
	v_mbcnt_lo_u32_b32 v7, -1, 0
	s_waitcnt_vscnt null, 0x0
	buffer_gl0_inv
	v_or_b32_e32 v8, 32, v7
	v_xor_b32_e32 v9, 16, v7
	v_xor_b32_e32 v10, 8, v7
	s_delay_alu instid0(VALU_DEP_3) | instskip(SKIP_1) | instid1(VALU_DEP_4)
	v_cmp_gt_i32_e32 vcc_lo, 32, v8
	v_cndmask_b32_e32 v8, v7, v8, vcc_lo
	v_cmp_gt_i32_e32 vcc_lo, 32, v9
	v_cndmask_b32_e32 v9, v7, v9, vcc_lo
	;; [unrolled: 2-line block ×3, first 2 shown]
	s_delay_alu instid0(VALU_DEP_1) | instskip(NEXT) | instid1(VALU_DEP_4)
	v_lshlrev_b32_e32 v10, 2, v10
	v_lshlrev_b32_e32 v9, 2, v9
	;; [unrolled: 1-line block ×3, first 2 shown]
	ds_bpermute_b32 v8, v8, v15
	s_waitcnt lgkmcnt(0)
	v_max_i32_e32 v8, v15, v8
	ds_bpermute_b32 v9, v9, v8
	s_waitcnt lgkmcnt(0)
	v_max_i32_e32 v8, v8, v9
	ds_bpermute_b32 v9, v10, v8
	v_xor_b32_e32 v10, 4, v7
	s_delay_alu instid0(VALU_DEP_1) | instskip(SKIP_1) | instid1(VALU_DEP_1)
	v_cmp_gt_i32_e32 vcc_lo, 32, v10
	v_cndmask_b32_e32 v10, v7, v10, vcc_lo
	v_lshlrev_b32_e32 v10, 2, v10
	s_waitcnt lgkmcnt(0)
	v_max_i32_e32 v8, v8, v9
	ds_bpermute_b32 v9, v10, v8
	v_xor_b32_e32 v10, 2, v7
	s_delay_alu instid0(VALU_DEP_1) | instskip(SKIP_1) | instid1(VALU_DEP_1)
	v_cmp_gt_i32_e32 vcc_lo, 32, v10
	v_cndmask_b32_e32 v10, v7, v10, vcc_lo
	v_lshlrev_b32_e32 v10, 2, v10
	s_waitcnt lgkmcnt(0)
	v_max_i32_e32 v8, v8, v9
	ds_bpermute_b32 v9, v10, v8
	v_xor_b32_e32 v10, 1, v7
	s_delay_alu instid0(VALU_DEP_1) | instskip(SKIP_4) | instid1(VALU_DEP_3)
	v_cmp_gt_i32_e32 vcc_lo, 32, v10
	v_cndmask_b32_e32 v10, v7, v10, vcc_lo
	v_cmp_eq_u32_e32 vcc_lo, 63, v0
	s_waitcnt lgkmcnt(0)
	v_max_i32_e32 v7, v8, v9
	v_lshlrev_b32_e32 v8, 2, v10
	ds_bpermute_b32 v8, v8, v7
	s_and_b32 exec_lo, exec_lo, vcc_lo
	s_cbranch_execz .LBB11_32
; %bb.23:
	s_waitcnt lgkmcnt(0)
	v_max_i32_e32 v0, v7, v8
	v_lshlrev_b64 v[7:8], 2, v[1:2]
	s_mov_b32 s12, exec_lo
	s_mov_b64 s[0:1], 0
	s_delay_alu instid0(VALU_DEP_2) | instskip(NEXT) | instid1(VALU_DEP_2)
	v_add_nc_u32_e32 v9, 1, v0
	v_add_co_u32 v7, vcc_lo, s10, v7
	s_delay_alu instid0(VALU_DEP_3)
	v_add_co_ci_u32_e32 v8, vcc_lo, s11, v8, vcc_lo
	v_sub_co_u32 v0, vcc_lo, v5, v13
	v_sub_co_ci_u32_e32 v2, vcc_lo, v6, v14, vcc_lo
	ds_store_b32 v12, v9
	global_store_b32 v[7:8], v9, off
.LBB11_24:                              ; =>This Inner Loop Header: Depth=1
	s_ctz_i32_b32 s13, s12
	s_delay_alu instid0(SALU_CYCLE_1) | instskip(SKIP_1) | instid1(VALU_DEP_1)
	v_readlane_b32 s11, v2, s13
	v_readlane_b32 s10, v0, s13
	v_cmp_gt_u64_e64 s14, s[0:1], s[10:11]
	s_delay_alu instid0(VALU_DEP_1) | instskip(SKIP_3) | instid1(SALU_CYCLE_1)
	s_and_b32 s14, s14, exec_lo
	s_cselect_b32 s1, s1, s11
	s_cselect_b32 s0, s0, s10
	s_lshl_b32 s10, 1, s13
	s_and_not1_b32 s12, s12, s10
	s_delay_alu instid0(SALU_CYCLE_1)
	s_cmp_lg_u32 s12, 0
	s_cbranch_scc1 .LBB11_24
; %bb.25:
	v_mbcnt_lo_u32_b32 v0, exec_lo, 0
	s_mov_b32 s10, exec_lo
	s_delay_alu instid0(VALU_DEP_1)
	v_cmpx_eq_u32_e32 0, v0
	s_xor_b32 s10, exec_lo, s10
	s_cbranch_execz .LBB11_27
; %bb.26:
	v_mov_b32_e32 v6, s1
	v_dual_mov_b32 v0, 0 :: v_dual_mov_b32 v5, s0
	global_atomic_max_u64 v0, v[5:6], s[4:5]
.LBB11_27:
	s_or_b32 exec_lo, exec_lo, s10
	v_add_co_u32 v2, vcc_lo, s8, v3
	v_add_co_ci_u32_e32 v3, vcc_lo, s9, v4, vcc_lo
	s_cmp_eq_u32 s3, 0
	s_cselect_b32 s0, -1, 0
	global_load_b64 v[2:3], v[2:3], off
	s_waitcnt vmcnt(0)
	v_cmp_eq_u64_e32 vcc_lo, -1, v[2:3]
	s_and_b32 s0, s0, vcc_lo
	s_delay_alu instid0(SALU_CYCLE_1)
	s_and_b32 exec_lo, exec_lo, s0
	s_cbranch_execz .LBB11_32
; %bb.28:
	v_add_nc_u32_e32 v0, s2, v1
	s_mov_b32 s1, exec_lo
	s_brev_b32 s0, -2
.LBB11_29:                              ; =>This Inner Loop Header: Depth=1
	s_ctz_i32_b32 s2, s1
	s_delay_alu instid0(VALU_DEP_1) | instid1(SALU_CYCLE_1)
	v_readlane_b32 s3, v0, s2
	s_lshl_b32 s2, 1, s2
	s_delay_alu instid0(SALU_CYCLE_1) | instskip(NEXT) | instid1(VALU_DEP_1)
	s_and_not1_b32 s1, s1, s2
	s_min_i32 s0, s0, s3
	s_cmp_lg_u32 s1, 0
	s_cbranch_scc1 .LBB11_29
; %bb.30:
	v_mbcnt_lo_u32_b32 v0, exec_lo, 0
	s_mov_b32 s1, exec_lo
	s_delay_alu instid0(VALU_DEP_1)
	v_cmpx_eq_u32_e32 0, v0
	s_xor_b32 s1, exec_lo, s1
	s_cbranch_execz .LBB11_32
; %bb.31:
	v_dual_mov_b32 v0, 0 :: v_dual_mov_b32 v1, s0
	global_atomic_min_i32 v0, v1, s[6:7]
.LBB11_32:
	s_nop 0
	s_sendmsg sendmsg(MSG_DEALLOC_VGPRS)
	s_endpgm
	.section	.rodata,"a",@progbits
	.p2align	6, 0x0
	.amdhsa_kernel _ZN9rocsparseL27csrsv_analysis_lower_kernelILj1024ELj64ELb0EliEEvT3_PKT2_PKS1_PS2_PiS7_PS1_21rocsparse_index_base_20rocsparse_diag_type_
		.amdhsa_group_segment_fixed_size 64
		.amdhsa_private_segment_fixed_size 0
		.amdhsa_kernarg_size 64
		.amdhsa_user_sgpr_count 15
		.amdhsa_user_sgpr_dispatch_ptr 0
		.amdhsa_user_sgpr_queue_ptr 0
		.amdhsa_user_sgpr_kernarg_segment_ptr 1
		.amdhsa_user_sgpr_dispatch_id 0
		.amdhsa_user_sgpr_private_segment_size 0
		.amdhsa_wavefront_size32 1
		.amdhsa_uses_dynamic_stack 0
		.amdhsa_enable_private_segment 0
		.amdhsa_system_sgpr_workgroup_id_x 1
		.amdhsa_system_sgpr_workgroup_id_y 0
		.amdhsa_system_sgpr_workgroup_id_z 0
		.amdhsa_system_sgpr_workgroup_info 0
		.amdhsa_system_vgpr_workitem_id 0
		.amdhsa_next_free_vgpr 17
		.amdhsa_next_free_sgpr 21
		.amdhsa_reserve_vcc 1
		.amdhsa_float_round_mode_32 0
		.amdhsa_float_round_mode_16_64 0
		.amdhsa_float_denorm_mode_32 3
		.amdhsa_float_denorm_mode_16_64 3
		.amdhsa_dx10_clamp 1
		.amdhsa_ieee_mode 1
		.amdhsa_fp16_overflow 0
		.amdhsa_workgroup_processor_mode 1
		.amdhsa_memory_ordered 1
		.amdhsa_forward_progress 0
		.amdhsa_shared_vgpr_count 0
		.amdhsa_exception_fp_ieee_invalid_op 0
		.amdhsa_exception_fp_denorm_src 0
		.amdhsa_exception_fp_ieee_div_zero 0
		.amdhsa_exception_fp_ieee_overflow 0
		.amdhsa_exception_fp_ieee_underflow 0
		.amdhsa_exception_fp_ieee_inexact 0
		.amdhsa_exception_int_div_zero 0
	.end_amdhsa_kernel
	.section	.text._ZN9rocsparseL27csrsv_analysis_lower_kernelILj1024ELj64ELb0EliEEvT3_PKT2_PKS1_PS2_PiS7_PS1_21rocsparse_index_base_20rocsparse_diag_type_,"axG",@progbits,_ZN9rocsparseL27csrsv_analysis_lower_kernelILj1024ELj64ELb0EliEEvT3_PKT2_PKS1_PS2_PiS7_PS1_21rocsparse_index_base_20rocsparse_diag_type_,comdat
.Lfunc_end11:
	.size	_ZN9rocsparseL27csrsv_analysis_lower_kernelILj1024ELj64ELb0EliEEvT3_PKT2_PKS1_PS2_PiS7_PS1_21rocsparse_index_base_20rocsparse_diag_type_, .Lfunc_end11-_ZN9rocsparseL27csrsv_analysis_lower_kernelILj1024ELj64ELb0EliEEvT3_PKT2_PKS1_PS2_PiS7_PS1_21rocsparse_index_base_20rocsparse_diag_type_
                                        ; -- End function
	.section	.AMDGPU.csdata,"",@progbits
; Kernel info:
; codeLenInByte = 1328
; NumSgprs: 23
; NumVgprs: 17
; ScratchSize: 0
; MemoryBound: 0
; FloatMode: 240
; IeeeMode: 1
; LDSByteSize: 64 bytes/workgroup (compile time only)
; SGPRBlocks: 2
; VGPRBlocks: 2
; NumSGPRsForWavesPerEU: 23
; NumVGPRsForWavesPerEU: 17
; Occupancy: 16
; WaveLimiterHint : 1
; COMPUTE_PGM_RSRC2:SCRATCH_EN: 0
; COMPUTE_PGM_RSRC2:USER_SGPR: 15
; COMPUTE_PGM_RSRC2:TRAP_HANDLER: 0
; COMPUTE_PGM_RSRC2:TGID_X_EN: 1
; COMPUTE_PGM_RSRC2:TGID_Y_EN: 0
; COMPUTE_PGM_RSRC2:TGID_Z_EN: 0
; COMPUTE_PGM_RSRC2:TIDIG_COMP_CNT: 0
	.section	.text._ZN9rocsparseL27csrsv_analysis_upper_kernelILj1024ELj64ELb1EllEEvT3_PKT2_PKS1_PS2_PiS7_PS1_21rocsparse_index_base_20rocsparse_diag_type_,"axG",@progbits,_ZN9rocsparseL27csrsv_analysis_upper_kernelILj1024ELj64ELb1EllEEvT3_PKT2_PKS1_PS2_PiS7_PS1_21rocsparse_index_base_20rocsparse_diag_type_,comdat
	.globl	_ZN9rocsparseL27csrsv_analysis_upper_kernelILj1024ELj64ELb1EllEEvT3_PKT2_PKS1_PS2_PiS7_PS1_21rocsparse_index_base_20rocsparse_diag_type_ ; -- Begin function _ZN9rocsparseL27csrsv_analysis_upper_kernelILj1024ELj64ELb1EllEEvT3_PKT2_PKS1_PS2_PiS7_PS1_21rocsparse_index_base_20rocsparse_diag_type_
	.p2align	8
	.type	_ZN9rocsparseL27csrsv_analysis_upper_kernelILj1024ELj64ELb1EllEEvT3_PKT2_PKS1_PS2_PiS7_PS1_21rocsparse_index_base_20rocsparse_diag_type_,@function
_ZN9rocsparseL27csrsv_analysis_upper_kernelILj1024ELj64ELb1EllEEvT3_PKT2_PKS1_PS2_PiS7_PS1_21rocsparse_index_base_20rocsparse_diag_type_: ; @_ZN9rocsparseL27csrsv_analysis_upper_kernelILj1024ELj64ELb1EllEEvT3_PKT2_PKS1_PS2_PiS7_PS1_21rocsparse_index_base_20rocsparse_diag_type_
; %bb.0:
	s_load_b64 s[2:3], s[0:1], 0x0
	s_mov_b32 s5, 0
	s_lshl_b32 s4, s15, 4
	v_lshrrev_b32_e32 v3, 6, v0
	s_not_b64 s[4:5], s[4:5]
	s_delay_alu instid0(VALU_DEP_1) | instskip(SKIP_4) | instid1(VALU_DEP_1)
	v_lshlrev_b32_e32 v13, 2, v3
	s_waitcnt lgkmcnt(0)
	s_add_u32 s12, s4, s2
	s_addc_u32 s13, s5, s3
	v_sub_co_u32 v1, s2, s12, v3
	v_sub_co_ci_u32_e64 v2, null, s13, 0, s2
	v_mov_b32_e32 v3, 0
	s_mov_b32 s2, exec_lo
	ds_store_b32 v13, v3
	s_waitcnt lgkmcnt(0)
	s_barrier
	buffer_gl0_inv
	v_cmpx_lt_i64_e32 -1, v[1:2]
	s_cbranch_execz .LBB12_37
; %bb.1:
	s_clause 0x1
	s_load_b64 s[2:3], s[0:1], 0x8
	s_load_b128 s[8:11], s[0:1], 0x18
	v_lshlrev_b64 v[3:4], 3, v[1:2]
	v_and_b32_e32 v0, 63, v0
	s_mov_b32 s4, exec_lo
	s_delay_alu instid0(VALU_DEP_1)
	v_cmpx_eq_u32_e32 0, v0
	s_cbranch_execz .LBB12_3
; %bb.2:
	v_mov_b32_e32 v5, -1
	s_waitcnt lgkmcnt(0)
	v_add_co_u32 v7, vcc_lo, s8, v3
	v_add_co_ci_u32_e32 v8, vcc_lo, s9, v4, vcc_lo
	s_delay_alu instid0(VALU_DEP_3)
	v_mov_b32_e32 v6, v5
	global_store_b64 v[7:8], v[5:6], off
.LBB12_3:
	s_or_b32 exec_lo, exec_lo, s4
	s_waitcnt lgkmcnt(0)
	v_add_co_u32 v5, vcc_lo, s2, v3
	v_add_co_ci_u32_e32 v6, vcc_lo, s3, v4, vcc_lo
	s_clause 0x1
	s_load_b64 s[2:3], s[0:1], 0x38
	s_load_b128 s[4:7], s[0:1], 0x28
	v_not_b32_e32 v9, v0
	global_load_b128 v[5:8], v[5:6], off
	s_mov_b32 s15, 0
	s_mov_b32 s16, -1
	s_mov_b32 s14, exec_lo
	v_ashrrev_i32_e32 v10, 31, v9
	v_mov_b32_e32 v16, 0
	s_waitcnt vmcnt(0) lgkmcnt(0)
	v_sub_co_u32 v14, vcc_lo, v7, s2
	v_subrev_co_ci_u32_e32 v15, vcc_lo, 0, v8, vcc_lo
	v_sub_co_u32 v5, vcc_lo, v5, s2
	v_subrev_co_ci_u32_e32 v6, vcc_lo, 0, v6, vcc_lo
	s_delay_alu instid0(VALU_DEP_4) | instskip(NEXT) | instid1(VALU_DEP_4)
	v_add_co_u32 v7, vcc_lo, v14, v9
	v_add_co_ci_u32_e32 v8, vcc_lo, v15, v10, vcc_lo
	v_mov_b32_e32 v9, -1
	v_mov_b32_e32 v10, -1
	s_delay_alu instid0(VALU_DEP_3)
	v_cmpx_ge_i64_e64 v[7:8], v[5:6]
	s_cbranch_execz .LBB12_15
; %bb.4:
	s_load_b64 s[0:1], s[0:1], 0x10
	v_mov_b32_e32 v16, 0
                                        ; implicit-def: $sgpr16
                                        ; implicit-def: $sgpr18
                                        ; implicit-def: $sgpr17
	s_branch .LBB12_8
.LBB12_5:                               ;   in Loop: Header=BB12_8 Depth=1
	s_or_b32 exec_lo, exec_lo, s21
.LBB12_6:                               ;   in Loop: Header=BB12_8 Depth=1
	s_delay_alu instid0(SALU_CYCLE_1)
	s_or_b32 exec_lo, exec_lo, s20
	v_add_co_u32 v7, vcc_lo, 0xffffffc0, v7
	v_add_co_ci_u32_e32 v8, vcc_lo, -1, v8, vcc_lo
	v_max_i32_e32 v16, v17, v16
	s_and_not1_b32 s18, s18, exec_lo
	s_or_b32 s17, s17, exec_lo
	s_delay_alu instid0(VALU_DEP_2) | instskip(SKIP_1) | instid1(SALU_CYCLE_1)
	v_cmp_lt_i64_e32 vcc_lo, v[7:8], v[5:6]
	s_and_b32 s20, vcc_lo, exec_lo
	s_or_b32 s18, s18, s20
.LBB12_7:                               ;   in Loop: Header=BB12_8 Depth=1
	s_or_b32 exec_lo, exec_lo, s19
	s_delay_alu instid0(SALU_CYCLE_1) | instskip(NEXT) | instid1(SALU_CYCLE_1)
	s_and_b32 s19, exec_lo, s18
	s_or_b32 s15, s19, s15
	s_and_not1_b32 s16, s16, exec_lo
	s_and_b32 s19, s17, exec_lo
	s_delay_alu instid0(SALU_CYCLE_1)
	s_or_b32 s16, s16, s19
	s_and_not1_b32 exec_lo, exec_lo, s15
	s_cbranch_execz .LBB12_14
.LBB12_8:                               ; =>This Loop Header: Depth=1
                                        ;     Child Loop BB12_12 Depth 2
                                        ;       Child Loop BB12_13 Depth 3
	v_lshlrev_b64 v[9:10], 3, v[7:8]
	s_and_not1_b32 s17, s17, exec_lo
	s_or_b32 s18, s18, exec_lo
	s_mov_b32 s19, exec_lo
	s_waitcnt lgkmcnt(0)
	s_delay_alu instid0(VALU_DEP_1)
	v_add_co_u32 v9, vcc_lo, s0, v9
	v_add_co_ci_u32_e32 v10, vcc_lo, s1, v10, vcc_lo
	global_load_b64 v[9:10], v[9:10], off slc dlc
	s_waitcnt vmcnt(0)
	v_sub_co_u32 v9, vcc_lo, v9, s2
	v_subrev_co_ci_u32_e32 v10, vcc_lo, 0, v10, vcc_lo
	s_delay_alu instid0(VALU_DEP_1)
	v_cmpx_lt_i64_e64 s[12:13], v[9:10]
	s_cbranch_execz .LBB12_7
; %bb.9:                                ;   in Loop: Header=BB12_8 Depth=1
	v_lshlrev_b64 v[11:12], 2, v[9:10]
	s_mov_b32 s20, exec_lo
	s_delay_alu instid0(VALU_DEP_1) | instskip(NEXT) | instid1(VALU_DEP_2)
	v_add_co_u32 v11, vcc_lo, s10, v11
	v_add_co_ci_u32_e32 v12, vcc_lo, s11, v12, vcc_lo
	global_load_b32 v17, v[11:12], off glc
	s_waitcnt vmcnt(0)
	v_cmpx_eq_u32_e32 0, v17
	s_cbranch_execz .LBB12_6
; %bb.10:                               ;   in Loop: Header=BB12_8 Depth=1
	s_mov_b32 s21, 0
	s_mov_b32 s22, 0
	s_branch .LBB12_12
	.p2align	6
.LBB12_11:                              ;   in Loop: Header=BB12_12 Depth=2
	global_load_b32 v17, v[11:12], off glc
	s_cmpk_lt_u32 s22, 0xf43
	s_cselect_b32 s23, -1, 0
	s_delay_alu instid0(SALU_CYCLE_1) | instskip(SKIP_4) | instid1(SALU_CYCLE_1)
	s_cmp_lg_u32 s23, 0
	s_addc_u32 s22, s22, 0
	s_waitcnt vmcnt(0)
	v_cmp_ne_u32_e32 vcc_lo, 0, v17
	s_or_b32 s21, vcc_lo, s21
	s_and_not1_b32 exec_lo, exec_lo, s21
	s_cbranch_execz .LBB12_5
.LBB12_12:                              ;   Parent Loop BB12_8 Depth=1
                                        ; =>  This Loop Header: Depth=2
                                        ;       Child Loop BB12_13 Depth 3
	s_cmp_eq_u32 s22, 0
	s_mov_b32 s23, s22
	s_cbranch_scc1 .LBB12_11
.LBB12_13:                              ;   Parent Loop BB12_8 Depth=1
                                        ;     Parent Loop BB12_12 Depth=2
                                        ; =>    This Inner Loop Header: Depth=3
	s_add_i32 s23, s23, -1
	s_sleep 1
	s_cmp_eq_u32 s23, 0
	s_cbranch_scc0 .LBB12_13
	s_branch .LBB12_11
.LBB12_14:
	s_or_b32 exec_lo, exec_lo, s15
	s_delay_alu instid0(SALU_CYCLE_1)
	s_or_not1_b32 s16, s16, exec_lo
.LBB12_15:
	s_or_b32 exec_lo, exec_lo, s14
	s_xor_b32 s1, s16, -1
	s_delay_alu instid0(SALU_CYCLE_1)
	s_and_saveexec_b32 s0, s1
	s_cbranch_execz .LBB12_27
; %bb.16:
	s_mov_b32 s1, exec_lo
	v_cmpx_eq_u64_e64 v[9:10], v[1:2]
	s_cbranch_execz .LBB12_18
; %bb.17:
	v_add_co_u32 v11, vcc_lo, s8, v3
	v_add_co_ci_u32_e32 v12, vcc_lo, s9, v4, vcc_lo
	global_store_b64 v[11:12], v[7:8], off
.LBB12_18:
	s_or_b32 exec_lo, exec_lo, s1
	s_delay_alu instid0(SALU_CYCLE_1)
	s_mov_b32 s1, exec_lo
	v_cmpx_gt_i64_e64 v[9:10], v[1:2]
	s_cbranch_execz .LBB12_26
; %bb.19:
	v_sub_nc_u32_e32 v7, s12, v9
	s_mov_b32 s13, 0
	s_mov_b32 s12, exec_lo
	s_delay_alu instid0(VALU_DEP_1)
	v_lshlrev_b32_e32 v7, 2, v7
	ds_load_b32 v8, v7
	s_waitcnt lgkmcnt(0)
	v_cmpx_eq_u32_e32 0, v8
	s_cbranch_execz .LBB12_25
; %bb.20:
	s_mov_b32 s14, 0
	s_branch .LBB12_22
	.p2align	6
.LBB12_21:                              ;   in Loop: Header=BB12_22 Depth=1
	ds_load_b32 v8, v7
	s_cmpk_lt_u32 s14, 0xf43
	s_cselect_b32 s15, -1, 0
	s_delay_alu instid0(SALU_CYCLE_1) | instskip(SKIP_4) | instid1(SALU_CYCLE_1)
	s_cmp_lg_u32 s15, 0
	s_addc_u32 s14, s14, 0
	s_waitcnt lgkmcnt(0)
	v_cmp_ne_u32_e32 vcc_lo, 0, v8
	s_or_b32 s13, vcc_lo, s13
	s_and_not1_b32 exec_lo, exec_lo, s13
	s_cbranch_execz .LBB12_24
.LBB12_22:                              ; =>This Loop Header: Depth=1
                                        ;     Child Loop BB12_23 Depth 2
	s_cmp_eq_u32 s14, 0
	s_mov_b32 s15, s14
	s_cbranch_scc1 .LBB12_21
.LBB12_23:                              ;   Parent Loop BB12_22 Depth=1
                                        ; =>  This Inner Loop Header: Depth=2
	s_add_i32 s15, s15, -1
	s_sleep 1
	s_cmp_eq_u32 s15, 0
	s_cbranch_scc0 .LBB12_23
	s_branch .LBB12_21
.LBB12_24:
	s_or_b32 exec_lo, exec_lo, s13
.LBB12_25:
	s_delay_alu instid0(SALU_CYCLE_1)
	s_or_b32 exec_lo, exec_lo, s12
	v_max_i32_e32 v16, v8, v16
.LBB12_26:
	s_or_b32 exec_lo, exec_lo, s1
.LBB12_27:
	s_delay_alu instid0(SALU_CYCLE_1)
	s_or_b32 exec_lo, exec_lo, s0
	v_mbcnt_lo_u32_b32 v7, -1, 0
	s_waitcnt_vscnt null, 0x0
	buffer_gl0_inv
	v_or_b32_e32 v8, 32, v7
	v_xor_b32_e32 v9, 16, v7
	v_xor_b32_e32 v10, 8, v7
	s_delay_alu instid0(VALU_DEP_3) | instskip(SKIP_1) | instid1(VALU_DEP_4)
	v_cmp_gt_i32_e32 vcc_lo, 32, v8
	v_cndmask_b32_e32 v8, v7, v8, vcc_lo
	v_cmp_gt_i32_e32 vcc_lo, 32, v9
	v_cndmask_b32_e32 v9, v7, v9, vcc_lo
	;; [unrolled: 2-line block ×3, first 2 shown]
	s_delay_alu instid0(VALU_DEP_1) | instskip(NEXT) | instid1(VALU_DEP_4)
	v_lshlrev_b32_e32 v10, 2, v10
	v_lshlrev_b32_e32 v9, 2, v9
	;; [unrolled: 1-line block ×3, first 2 shown]
	ds_bpermute_b32 v8, v8, v16
	s_waitcnt lgkmcnt(0)
	v_max_i32_e32 v8, v16, v8
	ds_bpermute_b32 v9, v9, v8
	s_waitcnt lgkmcnt(0)
	v_max_i32_e32 v8, v8, v9
	ds_bpermute_b32 v9, v10, v8
	v_xor_b32_e32 v10, 4, v7
	s_delay_alu instid0(VALU_DEP_1) | instskip(SKIP_1) | instid1(VALU_DEP_1)
	v_cmp_gt_i32_e32 vcc_lo, 32, v10
	v_cndmask_b32_e32 v10, v7, v10, vcc_lo
	v_lshlrev_b32_e32 v10, 2, v10
	s_waitcnt lgkmcnt(0)
	v_max_i32_e32 v8, v8, v9
	ds_bpermute_b32 v9, v10, v8
	v_xor_b32_e32 v10, 2, v7
	s_delay_alu instid0(VALU_DEP_1) | instskip(SKIP_1) | instid1(VALU_DEP_1)
	v_cmp_gt_i32_e32 vcc_lo, 32, v10
	v_cndmask_b32_e32 v10, v7, v10, vcc_lo
	v_lshlrev_b32_e32 v10, 2, v10
	s_waitcnt lgkmcnt(0)
	v_max_i32_e32 v8, v8, v9
	ds_bpermute_b32 v9, v10, v8
	v_xor_b32_e32 v10, 1, v7
	s_delay_alu instid0(VALU_DEP_1) | instskip(SKIP_4) | instid1(VALU_DEP_3)
	v_cmp_gt_i32_e32 vcc_lo, 32, v10
	v_cndmask_b32_e32 v10, v7, v10, vcc_lo
	v_cmp_eq_u32_e32 vcc_lo, 63, v0
	s_waitcnt lgkmcnt(0)
	v_max_i32_e32 v7, v8, v9
	v_lshlrev_b32_e32 v8, 2, v10
	ds_bpermute_b32 v8, v8, v7
	s_and_b32 exec_lo, exec_lo, vcc_lo
	s_cbranch_execz .LBB12_37
; %bb.28:
	s_waitcnt lgkmcnt(0)
	v_max_i32_e32 v0, v7, v8
	v_lshlrev_b64 v[7:8], 2, v[1:2]
	s_mov_b32 s12, exec_lo
	s_mov_b64 s[0:1], 0
	s_delay_alu instid0(VALU_DEP_2) | instskip(NEXT) | instid1(VALU_DEP_2)
	v_add_nc_u32_e32 v9, 1, v0
	v_add_co_u32 v7, vcc_lo, s10, v7
	s_delay_alu instid0(VALU_DEP_3)
	v_add_co_ci_u32_e32 v8, vcc_lo, s11, v8, vcc_lo
	v_sub_co_u32 v0, vcc_lo, v14, v5
	v_sub_co_ci_u32_e32 v5, vcc_lo, v15, v6, vcc_lo
	ds_store_b32 v13, v9
	global_store_b32 v[7:8], v9, off
.LBB12_29:                              ; =>This Inner Loop Header: Depth=1
	s_ctz_i32_b32 s13, s12
	s_delay_alu instid0(SALU_CYCLE_1) | instskip(SKIP_1) | instid1(VALU_DEP_1)
	v_readlane_b32 s11, v5, s13
	v_readlane_b32 s10, v0, s13
	v_cmp_gt_u64_e64 s14, s[0:1], s[10:11]
	s_delay_alu instid0(VALU_DEP_1) | instskip(SKIP_3) | instid1(SALU_CYCLE_1)
	s_and_b32 s14, s14, exec_lo
	s_cselect_b32 s1, s1, s11
	s_cselect_b32 s0, s0, s10
	s_lshl_b32 s10, 1, s13
	s_and_not1_b32 s12, s12, s10
	s_delay_alu instid0(SALU_CYCLE_1)
	s_cmp_lg_u32 s12, 0
	s_cbranch_scc1 .LBB12_29
; %bb.30:
	v_mbcnt_lo_u32_b32 v0, exec_lo, 0
	s_mov_b32 s10, exec_lo
	s_delay_alu instid0(VALU_DEP_1)
	v_cmpx_eq_u32_e32 0, v0
	s_xor_b32 s10, exec_lo, s10
	s_cbranch_execz .LBB12_32
; %bb.31:
	v_mov_b32_e32 v6, s1
	v_dual_mov_b32 v0, 0 :: v_dual_mov_b32 v5, s0
	global_atomic_max_u64 v0, v[5:6], s[4:5]
.LBB12_32:
	s_or_b32 exec_lo, exec_lo, s10
	v_add_co_u32 v3, vcc_lo, s8, v3
	v_add_co_ci_u32_e32 v4, vcc_lo, s9, v4, vcc_lo
	s_cmp_eq_u32 s3, 0
	s_mov_b64 s[0:1], -1
	s_cselect_b32 s3, -1, 0
	global_load_b64 v[3:4], v[3:4], off
	s_waitcnt vmcnt(0)
	v_cmp_eq_u64_e32 vcc_lo, -1, v[3:4]
	s_and_b32 s3, s3, vcc_lo
	s_delay_alu instid0(SALU_CYCLE_1)
	s_and_b32 exec_lo, exec_lo, s3
	s_cbranch_execz .LBB12_37
; %bb.33:
	v_add_co_u32 v0, vcc_lo, v1, s2
	v_add_co_ci_u32_e32 v1, vcc_lo, 0, v2, vcc_lo
	s_mov_b32 s3, exec_lo
.LBB12_34:                              ; =>This Inner Loop Header: Depth=1
	s_delay_alu instid0(SALU_CYCLE_1)
	s_ctz_i32_b32 s2, s3
	s_delay_alu instid0(VALU_DEP_1) | instid1(SALU_CYCLE_1)
	v_readlane_b32 s5, v1, s2
	v_readlane_b32 s4, v0, s2
	s_delay_alu instid0(VALU_DEP_1) | instskip(NEXT) | instid1(VALU_DEP_1)
	v_cmp_lt_u64_e64 s8, s[0:1], s[4:5]
	s_and_b32 s8, s8, exec_lo
	s_cselect_b32 s1, s1, s5
	s_cselect_b32 s0, s0, s4
	s_lshl_b32 s2, 1, s2
	s_delay_alu instid0(SALU_CYCLE_1) | instskip(NEXT) | instid1(SALU_CYCLE_1)
	s_and_not1_b32 s3, s3, s2
	s_cmp_lg_u32 s3, 0
	s_cbranch_scc1 .LBB12_34
; %bb.35:
	v_mbcnt_lo_u32_b32 v0, exec_lo, 0
	s_mov_b32 s2, exec_lo
	s_delay_alu instid0(VALU_DEP_1)
	v_cmpx_eq_u32_e32 0, v0
	s_xor_b32 s2, exec_lo, s2
	s_cbranch_execz .LBB12_37
; %bb.36:
	v_mov_b32_e32 v0, s0
	v_dual_mov_b32 v2, 0 :: v_dual_mov_b32 v1, s1
	global_atomic_min_u64 v2, v[0:1], s[6:7]
.LBB12_37:
	s_nop 0
	s_sendmsg sendmsg(MSG_DEALLOC_VGPRS)
	s_endpgm
	.section	.rodata,"a",@progbits
	.p2align	6, 0x0
	.amdhsa_kernel _ZN9rocsparseL27csrsv_analysis_upper_kernelILj1024ELj64ELb1EllEEvT3_PKT2_PKS1_PS2_PiS7_PS1_21rocsparse_index_base_20rocsparse_diag_type_
		.amdhsa_group_segment_fixed_size 64
		.amdhsa_private_segment_fixed_size 0
		.amdhsa_kernarg_size 64
		.amdhsa_user_sgpr_count 15
		.amdhsa_user_sgpr_dispatch_ptr 0
		.amdhsa_user_sgpr_queue_ptr 0
		.amdhsa_user_sgpr_kernarg_segment_ptr 1
		.amdhsa_user_sgpr_dispatch_id 0
		.amdhsa_user_sgpr_private_segment_size 0
		.amdhsa_wavefront_size32 1
		.amdhsa_uses_dynamic_stack 0
		.amdhsa_enable_private_segment 0
		.amdhsa_system_sgpr_workgroup_id_x 1
		.amdhsa_system_sgpr_workgroup_id_y 0
		.amdhsa_system_sgpr_workgroup_id_z 0
		.amdhsa_system_sgpr_workgroup_info 0
		.amdhsa_system_vgpr_workitem_id 0
		.amdhsa_next_free_vgpr 18
		.amdhsa_next_free_sgpr 24
		.amdhsa_reserve_vcc 1
		.amdhsa_float_round_mode_32 0
		.amdhsa_float_round_mode_16_64 0
		.amdhsa_float_denorm_mode_32 3
		.amdhsa_float_denorm_mode_16_64 3
		.amdhsa_dx10_clamp 1
		.amdhsa_ieee_mode 1
		.amdhsa_fp16_overflow 0
		.amdhsa_workgroup_processor_mode 1
		.amdhsa_memory_ordered 1
		.amdhsa_forward_progress 0
		.amdhsa_shared_vgpr_count 0
		.amdhsa_exception_fp_ieee_invalid_op 0
		.amdhsa_exception_fp_denorm_src 0
		.amdhsa_exception_fp_ieee_div_zero 0
		.amdhsa_exception_fp_ieee_overflow 0
		.amdhsa_exception_fp_ieee_underflow 0
		.amdhsa_exception_fp_ieee_inexact 0
		.amdhsa_exception_int_div_zero 0
	.end_amdhsa_kernel
	.section	.text._ZN9rocsparseL27csrsv_analysis_upper_kernelILj1024ELj64ELb1EllEEvT3_PKT2_PKS1_PS2_PiS7_PS1_21rocsparse_index_base_20rocsparse_diag_type_,"axG",@progbits,_ZN9rocsparseL27csrsv_analysis_upper_kernelILj1024ELj64ELb1EllEEvT3_PKT2_PKS1_PS2_PiS7_PS1_21rocsparse_index_base_20rocsparse_diag_type_,comdat
.Lfunc_end12:
	.size	_ZN9rocsparseL27csrsv_analysis_upper_kernelILj1024ELj64ELb1EllEEvT3_PKT2_PKS1_PS2_PiS7_PS1_21rocsparse_index_base_20rocsparse_diag_type_, .Lfunc_end12-_ZN9rocsparseL27csrsv_analysis_upper_kernelILj1024ELj64ELb1EllEEvT3_PKT2_PKS1_PS2_PiS7_PS1_21rocsparse_index_base_20rocsparse_diag_type_
                                        ; -- End function
	.section	.AMDGPU.csdata,"",@progbits
; Kernel info:
; codeLenInByte = 1540
; NumSgprs: 26
; NumVgprs: 18
; ScratchSize: 0
; MemoryBound: 0
; FloatMode: 240
; IeeeMode: 1
; LDSByteSize: 64 bytes/workgroup (compile time only)
; SGPRBlocks: 3
; VGPRBlocks: 2
; NumSGPRsForWavesPerEU: 26
; NumVGPRsForWavesPerEU: 18
; Occupancy: 16
; WaveLimiterHint : 1
; COMPUTE_PGM_RSRC2:SCRATCH_EN: 0
; COMPUTE_PGM_RSRC2:USER_SGPR: 15
; COMPUTE_PGM_RSRC2:TRAP_HANDLER: 0
; COMPUTE_PGM_RSRC2:TGID_X_EN: 1
; COMPUTE_PGM_RSRC2:TGID_Y_EN: 0
; COMPUTE_PGM_RSRC2:TGID_Z_EN: 0
; COMPUTE_PGM_RSRC2:TIDIG_COMP_CNT: 0
	.section	.text._ZN9rocsparseL27csrsv_analysis_lower_kernelILj1024ELj64ELb1EllEEvT3_PKT2_PKS1_PS2_PiS7_PS1_21rocsparse_index_base_20rocsparse_diag_type_,"axG",@progbits,_ZN9rocsparseL27csrsv_analysis_lower_kernelILj1024ELj64ELb1EllEEvT3_PKT2_PKS1_PS2_PiS7_PS1_21rocsparse_index_base_20rocsparse_diag_type_,comdat
	.globl	_ZN9rocsparseL27csrsv_analysis_lower_kernelILj1024ELj64ELb1EllEEvT3_PKT2_PKS1_PS2_PiS7_PS1_21rocsparse_index_base_20rocsparse_diag_type_ ; -- Begin function _ZN9rocsparseL27csrsv_analysis_lower_kernelILj1024ELj64ELb1EllEEvT3_PKT2_PKS1_PS2_PiS7_PS1_21rocsparse_index_base_20rocsparse_diag_type_
	.p2align	8
	.type	_ZN9rocsparseL27csrsv_analysis_lower_kernelILj1024ELj64ELb1EllEEvT3_PKT2_PKS1_PS2_PiS7_PS1_21rocsparse_index_base_20rocsparse_diag_type_,@function
_ZN9rocsparseL27csrsv_analysis_lower_kernelILj1024ELj64ELb1EllEEvT3_PKT2_PKS1_PS2_PiS7_PS1_21rocsparse_index_base_20rocsparse_diag_type_: ; @_ZN9rocsparseL27csrsv_analysis_lower_kernelILj1024ELj64ELb1EllEEvT3_PKT2_PKS1_PS2_PiS7_PS1_21rocsparse_index_base_20rocsparse_diag_type_
; %bb.0:
	s_load_b64 s[2:3], s[0:1], 0x0
	v_lshrrev_b32_e32 v3, 6, v0
	s_lshl_b32 s12, s15, 4
	s_delay_alu instid0(VALU_DEP_1)
	v_dual_mov_b32 v2, 0 :: v_dual_lshlrev_b32 v13, 2, v3
	v_or_b32_e32 v1, s12, v3
	ds_store_b32 v13, v2
	s_waitcnt lgkmcnt(0)
	s_barrier
	buffer_gl0_inv
	v_cmp_gt_i64_e32 vcc_lo, s[2:3], v[1:2]
	s_and_saveexec_b32 s2, vcc_lo
	s_cbranch_execz .LBB13_37
; %bb.1:
	s_clause 0x1
	s_load_b64 s[2:3], s[0:1], 0x8
	s_load_b128 s[8:11], s[0:1], 0x18
	v_lshlrev_b64 v[3:4], 3, v[1:2]
	v_and_b32_e32 v0, 63, v0
	s_mov_b32 s13, 0
	s_mov_b32 s4, exec_lo
	s_delay_alu instid0(VALU_DEP_1)
	v_cmpx_eq_u32_e32 0, v0
	s_cbranch_execz .LBB13_3
; %bb.2:
	v_mov_b32_e32 v5, -1
	s_waitcnt lgkmcnt(0)
	v_add_co_u32 v7, vcc_lo, s8, v3
	v_add_co_ci_u32_e32 v8, vcc_lo, s9, v4, vcc_lo
	s_delay_alu instid0(VALU_DEP_3)
	v_mov_b32_e32 v6, v5
	global_store_b64 v[7:8], v[5:6], off
.LBB13_3:
	s_or_b32 exec_lo, exec_lo, s4
	s_waitcnt lgkmcnt(0)
	v_add_co_u32 v5, vcc_lo, s2, v3
	v_add_co_ci_u32_e32 v6, vcc_lo, s3, v4, vcc_lo
	v_dual_mov_b32 v9, -1 :: v_dual_mov_b32 v16, 0
	v_mov_b32_e32 v10, -1
	global_load_b128 v[5:8], v[5:6], off
	s_clause 0x1
	s_load_b64 s[2:3], s[0:1], 0x38
	s_load_b128 s[4:7], s[0:1], 0x28
	s_mov_b32 s14, exec_lo
	s_waitcnt vmcnt(0) lgkmcnt(0)
	v_sub_co_u32 v14, vcc_lo, v5, s2
	v_subrev_co_ci_u32_e32 v15, vcc_lo, 0, v6, vcc_lo
	v_sub_co_u32 v5, vcc_lo, v7, s2
	v_subrev_co_ci_u32_e32 v6, vcc_lo, 0, v8, vcc_lo
	s_delay_alu instid0(VALU_DEP_4) | instskip(NEXT) | instid1(VALU_DEP_4)
	v_add_co_u32 v7, vcc_lo, v14, v0
	v_add_co_ci_u32_e32 v8, vcc_lo, 0, v15, vcc_lo
	s_delay_alu instid0(VALU_DEP_1)
	v_cmpx_lt_i64_e64 v[7:8], v[5:6]
	s_cbranch_execz .LBB13_15
; %bb.4:
	s_load_b64 s[0:1], s[0:1], 0x10
	v_mov_b32_e32 v16, 0
	s_mov_b32 s15, 0
                                        ; implicit-def: $sgpr16
                                        ; implicit-def: $sgpr18
                                        ; implicit-def: $sgpr17
	s_branch .LBB13_8
.LBB13_5:                               ;   in Loop: Header=BB13_8 Depth=1
	s_or_b32 exec_lo, exec_lo, s21
.LBB13_6:                               ;   in Loop: Header=BB13_8 Depth=1
	s_delay_alu instid0(SALU_CYCLE_1)
	s_or_b32 exec_lo, exec_lo, s20
	v_add_co_u32 v7, vcc_lo, v7, 64
	v_add_co_ci_u32_e32 v8, vcc_lo, 0, v8, vcc_lo
	v_max_i32_e32 v16, v17, v16
	s_and_not1_b32 s18, s18, exec_lo
	s_and_not1_b32 s17, s17, exec_lo
	s_delay_alu instid0(VALU_DEP_2) | instskip(SKIP_1) | instid1(SALU_CYCLE_1)
	v_cmp_ge_i64_e32 vcc_lo, v[7:8], v[5:6]
	s_and_b32 s20, vcc_lo, exec_lo
	s_or_b32 s18, s18, s20
.LBB13_7:                               ;   in Loop: Header=BB13_8 Depth=1
	s_or_b32 exec_lo, exec_lo, s19
	s_delay_alu instid0(SALU_CYCLE_1) | instskip(NEXT) | instid1(SALU_CYCLE_1)
	s_and_b32 s19, exec_lo, s18
	s_or_b32 s15, s19, s15
	s_and_not1_b32 s16, s16, exec_lo
	s_and_b32 s19, s17, exec_lo
	s_delay_alu instid0(SALU_CYCLE_1)
	s_or_b32 s16, s16, s19
	s_and_not1_b32 exec_lo, exec_lo, s15
	s_cbranch_execz .LBB13_14
.LBB13_8:                               ; =>This Loop Header: Depth=1
                                        ;     Child Loop BB13_12 Depth 2
                                        ;       Child Loop BB13_13 Depth 3
	v_lshlrev_b64 v[9:10], 3, v[7:8]
	s_or_b32 s17, s17, exec_lo
	s_or_b32 s18, s18, exec_lo
	s_mov_b32 s19, exec_lo
	s_waitcnt lgkmcnt(0)
	s_delay_alu instid0(VALU_DEP_1)
	v_add_co_u32 v9, vcc_lo, s0, v9
	v_add_co_ci_u32_e32 v10, vcc_lo, s1, v10, vcc_lo
	global_load_b64 v[9:10], v[9:10], off slc dlc
	s_waitcnt vmcnt(0)
	v_sub_co_u32 v9, vcc_lo, v9, s2
	v_subrev_co_ci_u32_e32 v10, vcc_lo, 0, v10, vcc_lo
	s_delay_alu instid0(VALU_DEP_1)
	v_cmpx_gt_i64_e64 s[12:13], v[9:10]
	s_cbranch_execz .LBB13_7
; %bb.9:                                ;   in Loop: Header=BB13_8 Depth=1
	v_lshlrev_b64 v[11:12], 2, v[9:10]
	s_mov_b32 s20, exec_lo
	s_delay_alu instid0(VALU_DEP_1) | instskip(NEXT) | instid1(VALU_DEP_2)
	v_add_co_u32 v11, vcc_lo, s10, v11
	v_add_co_ci_u32_e32 v12, vcc_lo, s11, v12, vcc_lo
	global_load_b32 v17, v[11:12], off glc
	s_waitcnt vmcnt(0)
	v_cmpx_eq_u32_e32 0, v17
	s_cbranch_execz .LBB13_6
; %bb.10:                               ;   in Loop: Header=BB13_8 Depth=1
	s_mov_b32 s21, 0
	s_mov_b32 s22, 0
	s_branch .LBB13_12
	.p2align	6
.LBB13_11:                              ;   in Loop: Header=BB13_12 Depth=2
	global_load_b32 v17, v[11:12], off glc
	s_cmpk_lt_u32 s22, 0xf43
	s_cselect_b32 s23, -1, 0
	s_delay_alu instid0(SALU_CYCLE_1) | instskip(SKIP_4) | instid1(SALU_CYCLE_1)
	s_cmp_lg_u32 s23, 0
	s_addc_u32 s22, s22, 0
	s_waitcnt vmcnt(0)
	v_cmp_ne_u32_e32 vcc_lo, 0, v17
	s_or_b32 s21, vcc_lo, s21
	s_and_not1_b32 exec_lo, exec_lo, s21
	s_cbranch_execz .LBB13_5
.LBB13_12:                              ;   Parent Loop BB13_8 Depth=1
                                        ; =>  This Loop Header: Depth=2
                                        ;       Child Loop BB13_13 Depth 3
	s_cmp_eq_u32 s22, 0
	s_mov_b32 s23, s22
	s_cbranch_scc1 .LBB13_11
.LBB13_13:                              ;   Parent Loop BB13_8 Depth=1
                                        ;     Parent Loop BB13_12 Depth=2
                                        ; =>    This Inner Loop Header: Depth=3
	s_add_i32 s23, s23, -1
	s_sleep 1
	s_cmp_eq_u32 s23, 0
	s_cbranch_scc0 .LBB13_13
	s_branch .LBB13_11
.LBB13_14:
	s_or_b32 exec_lo, exec_lo, s15
	s_delay_alu instid0(SALU_CYCLE_1)
	s_and_b32 s13, s16, exec_lo
.LBB13_15:
	s_or_b32 exec_lo, exec_lo, s14
	s_and_saveexec_b32 s0, s13
	s_cbranch_execz .LBB13_27
; %bb.16:
	s_mov_b32 s1, exec_lo
	v_cmpx_eq_u64_e64 v[9:10], v[1:2]
	s_cbranch_execz .LBB13_18
; %bb.17:
	v_add_co_u32 v11, vcc_lo, s8, v3
	v_add_co_ci_u32_e32 v12, vcc_lo, s9, v4, vcc_lo
	global_store_b64 v[11:12], v[7:8], off
.LBB13_18:
	s_or_b32 exec_lo, exec_lo, s1
	s_delay_alu instid0(SALU_CYCLE_1)
	s_mov_b32 s1, exec_lo
	v_cmpx_lt_i64_e64 v[9:10], v[1:2]
	s_cbranch_execz .LBB13_26
; %bb.19:
	v_subrev_nc_u32_e32 v7, s12, v9
	s_mov_b32 s13, 0
	s_mov_b32 s12, exec_lo
	s_delay_alu instid0(VALU_DEP_1)
	v_lshlrev_b32_e32 v7, 2, v7
	ds_load_b32 v8, v7
	s_waitcnt lgkmcnt(0)
	v_cmpx_eq_u32_e32 0, v8
	s_cbranch_execz .LBB13_25
; %bb.20:
	s_mov_b32 s14, 0
	s_branch .LBB13_22
	.p2align	6
.LBB13_21:                              ;   in Loop: Header=BB13_22 Depth=1
	ds_load_b32 v8, v7
	s_cmpk_lt_u32 s14, 0xf43
	s_cselect_b32 s15, -1, 0
	s_delay_alu instid0(SALU_CYCLE_1) | instskip(SKIP_4) | instid1(SALU_CYCLE_1)
	s_cmp_lg_u32 s15, 0
	s_addc_u32 s14, s14, 0
	s_waitcnt lgkmcnt(0)
	v_cmp_ne_u32_e32 vcc_lo, 0, v8
	s_or_b32 s13, vcc_lo, s13
	s_and_not1_b32 exec_lo, exec_lo, s13
	s_cbranch_execz .LBB13_24
.LBB13_22:                              ; =>This Loop Header: Depth=1
                                        ;     Child Loop BB13_23 Depth 2
	s_cmp_eq_u32 s14, 0
	s_mov_b32 s15, s14
	s_cbranch_scc1 .LBB13_21
.LBB13_23:                              ;   Parent Loop BB13_22 Depth=1
                                        ; =>  This Inner Loop Header: Depth=2
	s_add_i32 s15, s15, -1
	s_sleep 1
	s_cmp_eq_u32 s15, 0
	s_cbranch_scc0 .LBB13_23
	s_branch .LBB13_21
.LBB13_24:
	s_or_b32 exec_lo, exec_lo, s13
.LBB13_25:
	s_delay_alu instid0(SALU_CYCLE_1)
	s_or_b32 exec_lo, exec_lo, s12
	v_max_i32_e32 v16, v8, v16
.LBB13_26:
	s_or_b32 exec_lo, exec_lo, s1
.LBB13_27:
	s_delay_alu instid0(SALU_CYCLE_1)
	s_or_b32 exec_lo, exec_lo, s0
	v_mbcnt_lo_u32_b32 v7, -1, 0
	s_waitcnt_vscnt null, 0x0
	buffer_gl0_inv
	v_or_b32_e32 v8, 32, v7
	v_xor_b32_e32 v9, 16, v7
	v_xor_b32_e32 v10, 8, v7
	s_delay_alu instid0(VALU_DEP_3) | instskip(SKIP_1) | instid1(VALU_DEP_4)
	v_cmp_gt_i32_e32 vcc_lo, 32, v8
	v_cndmask_b32_e32 v8, v7, v8, vcc_lo
	v_cmp_gt_i32_e32 vcc_lo, 32, v9
	v_cndmask_b32_e32 v9, v7, v9, vcc_lo
	;; [unrolled: 2-line block ×3, first 2 shown]
	s_delay_alu instid0(VALU_DEP_1) | instskip(NEXT) | instid1(VALU_DEP_4)
	v_lshlrev_b32_e32 v10, 2, v10
	v_lshlrev_b32_e32 v9, 2, v9
	;; [unrolled: 1-line block ×3, first 2 shown]
	ds_bpermute_b32 v8, v8, v16
	s_waitcnt lgkmcnt(0)
	v_max_i32_e32 v8, v16, v8
	ds_bpermute_b32 v9, v9, v8
	s_waitcnt lgkmcnt(0)
	v_max_i32_e32 v8, v8, v9
	ds_bpermute_b32 v9, v10, v8
	v_xor_b32_e32 v10, 4, v7
	s_delay_alu instid0(VALU_DEP_1) | instskip(SKIP_1) | instid1(VALU_DEP_1)
	v_cmp_gt_i32_e32 vcc_lo, 32, v10
	v_cndmask_b32_e32 v10, v7, v10, vcc_lo
	v_lshlrev_b32_e32 v10, 2, v10
	s_waitcnt lgkmcnt(0)
	v_max_i32_e32 v8, v8, v9
	ds_bpermute_b32 v9, v10, v8
	v_xor_b32_e32 v10, 2, v7
	s_delay_alu instid0(VALU_DEP_1) | instskip(SKIP_1) | instid1(VALU_DEP_1)
	v_cmp_gt_i32_e32 vcc_lo, 32, v10
	v_cndmask_b32_e32 v10, v7, v10, vcc_lo
	v_lshlrev_b32_e32 v10, 2, v10
	s_waitcnt lgkmcnt(0)
	v_max_i32_e32 v8, v8, v9
	ds_bpermute_b32 v9, v10, v8
	v_xor_b32_e32 v10, 1, v7
	s_delay_alu instid0(VALU_DEP_1) | instskip(SKIP_4) | instid1(VALU_DEP_3)
	v_cmp_gt_i32_e32 vcc_lo, 32, v10
	v_cndmask_b32_e32 v10, v7, v10, vcc_lo
	v_cmp_eq_u32_e32 vcc_lo, 63, v0
	s_waitcnt lgkmcnt(0)
	v_max_i32_e32 v7, v8, v9
	v_lshlrev_b32_e32 v8, 2, v10
	ds_bpermute_b32 v8, v8, v7
	s_and_b32 exec_lo, exec_lo, vcc_lo
	s_cbranch_execz .LBB13_37
; %bb.28:
	s_waitcnt lgkmcnt(0)
	v_max_i32_e32 v0, v7, v8
	v_lshlrev_b64 v[7:8], 2, v[1:2]
	s_mov_b32 s12, exec_lo
	s_mov_b64 s[0:1], 0
	s_delay_alu instid0(VALU_DEP_2) | instskip(NEXT) | instid1(VALU_DEP_2)
	v_add_nc_u32_e32 v9, 1, v0
	v_add_co_u32 v7, vcc_lo, s10, v7
	s_delay_alu instid0(VALU_DEP_3)
	v_add_co_ci_u32_e32 v8, vcc_lo, s11, v8, vcc_lo
	v_sub_co_u32 v0, vcc_lo, v5, v14
	v_sub_co_ci_u32_e32 v2, vcc_lo, v6, v15, vcc_lo
	ds_store_b32 v13, v9
	global_store_b32 v[7:8], v9, off
.LBB13_29:                              ; =>This Inner Loop Header: Depth=1
	s_ctz_i32_b32 s13, s12
	s_delay_alu instid0(SALU_CYCLE_1) | instskip(SKIP_1) | instid1(VALU_DEP_1)
	v_readlane_b32 s11, v2, s13
	v_readlane_b32 s10, v0, s13
	v_cmp_gt_u64_e64 s14, s[0:1], s[10:11]
	s_delay_alu instid0(VALU_DEP_1) | instskip(SKIP_3) | instid1(SALU_CYCLE_1)
	s_and_b32 s14, s14, exec_lo
	s_cselect_b32 s1, s1, s11
	s_cselect_b32 s0, s0, s10
	s_lshl_b32 s10, 1, s13
	s_and_not1_b32 s12, s12, s10
	s_delay_alu instid0(SALU_CYCLE_1)
	s_cmp_lg_u32 s12, 0
	s_cbranch_scc1 .LBB13_29
; %bb.30:
	v_mbcnt_lo_u32_b32 v0, exec_lo, 0
	s_mov_b32 s10, exec_lo
	s_delay_alu instid0(VALU_DEP_1)
	v_cmpx_eq_u32_e32 0, v0
	s_xor_b32 s10, exec_lo, s10
	s_cbranch_execz .LBB13_32
; %bb.31:
	v_mov_b32_e32 v6, s1
	v_dual_mov_b32 v0, 0 :: v_dual_mov_b32 v5, s0
	global_atomic_max_u64 v0, v[5:6], s[4:5]
.LBB13_32:
	s_or_b32 exec_lo, exec_lo, s10
	v_add_co_u32 v2, vcc_lo, s8, v3
	v_add_co_ci_u32_e32 v3, vcc_lo, s9, v4, vcc_lo
	s_cmp_eq_u32 s3, 0
	s_mov_b64 s[0:1], -1
	s_cselect_b32 s3, -1, 0
	global_load_b64 v[2:3], v[2:3], off
	s_waitcnt vmcnt(0)
	v_cmp_eq_u64_e32 vcc_lo, -1, v[2:3]
	s_and_b32 s3, s3, vcc_lo
	s_delay_alu instid0(SALU_CYCLE_1)
	s_and_b32 exec_lo, exec_lo, s3
	s_cbranch_execz .LBB13_37
; %bb.33:
	v_add_co_u32 v0, s2, s2, v1
	s_delay_alu instid0(VALU_DEP_1)
	v_add_co_ci_u32_e64 v1, null, 0, 0, s2
	s_mov_b32 s3, exec_lo
.LBB13_34:                              ; =>This Inner Loop Header: Depth=1
	s_delay_alu instid0(SALU_CYCLE_1)
	s_ctz_i32_b32 s2, s3
	s_delay_alu instid0(VALU_DEP_1) | instid1(SALU_CYCLE_1)
	v_readlane_b32 s5, v1, s2
	v_readlane_b32 s4, v0, s2
	s_delay_alu instid0(VALU_DEP_1) | instskip(NEXT) | instid1(VALU_DEP_1)
	v_cmp_lt_u64_e64 s8, s[0:1], s[4:5]
	s_and_b32 s8, s8, exec_lo
	s_cselect_b32 s1, s1, s5
	s_cselect_b32 s0, s0, s4
	s_lshl_b32 s2, 1, s2
	s_delay_alu instid0(SALU_CYCLE_1) | instskip(NEXT) | instid1(SALU_CYCLE_1)
	s_and_not1_b32 s3, s3, s2
	s_cmp_lg_u32 s3, 0
	s_cbranch_scc1 .LBB13_34
; %bb.35:
	v_mbcnt_lo_u32_b32 v0, exec_lo, 0
	s_mov_b32 s2, exec_lo
	s_delay_alu instid0(VALU_DEP_1)
	v_cmpx_eq_u32_e32 0, v0
	s_xor_b32 s2, exec_lo, s2
	s_cbranch_execz .LBB13_37
; %bb.36:
	v_mov_b32_e32 v0, s0
	v_dual_mov_b32 v2, 0 :: v_dual_mov_b32 v1, s1
	global_atomic_min_u64 v2, v[0:1], s[6:7]
.LBB13_37:
	s_nop 0
	s_sendmsg sendmsg(MSG_DEALLOC_VGPRS)
	s_endpgm
	.section	.rodata,"a",@progbits
	.p2align	6, 0x0
	.amdhsa_kernel _ZN9rocsparseL27csrsv_analysis_lower_kernelILj1024ELj64ELb1EllEEvT3_PKT2_PKS1_PS2_PiS7_PS1_21rocsparse_index_base_20rocsparse_diag_type_
		.amdhsa_group_segment_fixed_size 64
		.amdhsa_private_segment_fixed_size 0
		.amdhsa_kernarg_size 64
		.amdhsa_user_sgpr_count 15
		.amdhsa_user_sgpr_dispatch_ptr 0
		.amdhsa_user_sgpr_queue_ptr 0
		.amdhsa_user_sgpr_kernarg_segment_ptr 1
		.amdhsa_user_sgpr_dispatch_id 0
		.amdhsa_user_sgpr_private_segment_size 0
		.amdhsa_wavefront_size32 1
		.amdhsa_uses_dynamic_stack 0
		.amdhsa_enable_private_segment 0
		.amdhsa_system_sgpr_workgroup_id_x 1
		.amdhsa_system_sgpr_workgroup_id_y 0
		.amdhsa_system_sgpr_workgroup_id_z 0
		.amdhsa_system_sgpr_workgroup_info 0
		.amdhsa_system_vgpr_workitem_id 0
		.amdhsa_next_free_vgpr 18
		.amdhsa_next_free_sgpr 24
		.amdhsa_reserve_vcc 1
		.amdhsa_float_round_mode_32 0
		.amdhsa_float_round_mode_16_64 0
		.amdhsa_float_denorm_mode_32 3
		.amdhsa_float_denorm_mode_16_64 3
		.amdhsa_dx10_clamp 1
		.amdhsa_ieee_mode 1
		.amdhsa_fp16_overflow 0
		.amdhsa_workgroup_processor_mode 1
		.amdhsa_memory_ordered 1
		.amdhsa_forward_progress 0
		.amdhsa_shared_vgpr_count 0
		.amdhsa_exception_fp_ieee_invalid_op 0
		.amdhsa_exception_fp_denorm_src 0
		.amdhsa_exception_fp_ieee_div_zero 0
		.amdhsa_exception_fp_ieee_overflow 0
		.amdhsa_exception_fp_ieee_underflow 0
		.amdhsa_exception_fp_ieee_inexact 0
		.amdhsa_exception_int_div_zero 0
	.end_amdhsa_kernel
	.section	.text._ZN9rocsparseL27csrsv_analysis_lower_kernelILj1024ELj64ELb1EllEEvT3_PKT2_PKS1_PS2_PiS7_PS1_21rocsparse_index_base_20rocsparse_diag_type_,"axG",@progbits,_ZN9rocsparseL27csrsv_analysis_lower_kernelILj1024ELj64ELb1EllEEvT3_PKT2_PKS1_PS2_PiS7_PS1_21rocsparse_index_base_20rocsparse_diag_type_,comdat
.Lfunc_end13:
	.size	_ZN9rocsparseL27csrsv_analysis_lower_kernelILj1024ELj64ELb1EllEEvT3_PKT2_PKS1_PS2_PiS7_PS1_21rocsparse_index_base_20rocsparse_diag_type_, .Lfunc_end13-_ZN9rocsparseL27csrsv_analysis_lower_kernelILj1024ELj64ELb1EllEEvT3_PKT2_PKS1_PS2_PiS7_PS1_21rocsparse_index_base_20rocsparse_diag_type_
                                        ; -- End function
	.section	.AMDGPU.csdata,"",@progbits
; Kernel info:
; codeLenInByte = 1496
; NumSgprs: 26
; NumVgprs: 18
; ScratchSize: 0
; MemoryBound: 0
; FloatMode: 240
; IeeeMode: 1
; LDSByteSize: 64 bytes/workgroup (compile time only)
; SGPRBlocks: 3
; VGPRBlocks: 2
; NumSGPRsForWavesPerEU: 26
; NumVGPRsForWavesPerEU: 18
; Occupancy: 16
; WaveLimiterHint : 1
; COMPUTE_PGM_RSRC2:SCRATCH_EN: 0
; COMPUTE_PGM_RSRC2:USER_SGPR: 15
; COMPUTE_PGM_RSRC2:TRAP_HANDLER: 0
; COMPUTE_PGM_RSRC2:TGID_X_EN: 1
; COMPUTE_PGM_RSRC2:TGID_Y_EN: 0
; COMPUTE_PGM_RSRC2:TGID_Z_EN: 0
; COMPUTE_PGM_RSRC2:TIDIG_COMP_CNT: 0
	.section	.text._ZN9rocsparseL27csrsv_analysis_upper_kernelILj1024ELj32ELb0EllEEvT3_PKT2_PKS1_PS2_PiS7_PS1_21rocsparse_index_base_20rocsparse_diag_type_,"axG",@progbits,_ZN9rocsparseL27csrsv_analysis_upper_kernelILj1024ELj32ELb0EllEEvT3_PKT2_PKS1_PS2_PiS7_PS1_21rocsparse_index_base_20rocsparse_diag_type_,comdat
	.globl	_ZN9rocsparseL27csrsv_analysis_upper_kernelILj1024ELj32ELb0EllEEvT3_PKT2_PKS1_PS2_PiS7_PS1_21rocsparse_index_base_20rocsparse_diag_type_ ; -- Begin function _ZN9rocsparseL27csrsv_analysis_upper_kernelILj1024ELj32ELb0EllEEvT3_PKT2_PKS1_PS2_PiS7_PS1_21rocsparse_index_base_20rocsparse_diag_type_
	.p2align	8
	.type	_ZN9rocsparseL27csrsv_analysis_upper_kernelILj1024ELj32ELb0EllEEvT3_PKT2_PKS1_PS2_PiS7_PS1_21rocsparse_index_base_20rocsparse_diag_type_,@function
_ZN9rocsparseL27csrsv_analysis_upper_kernelILj1024ELj32ELb0EllEEvT3_PKT2_PKS1_PS2_PiS7_PS1_21rocsparse_index_base_20rocsparse_diag_type_: ; @_ZN9rocsparseL27csrsv_analysis_upper_kernelILj1024ELj32ELb0EllEEvT3_PKT2_PKS1_PS2_PiS7_PS1_21rocsparse_index_base_20rocsparse_diag_type_
; %bb.0:
	s_load_b64 s[2:3], s[0:1], 0x0
	s_mov_b32 s5, 0
	s_lshl_b32 s4, s15, 5
	v_lshrrev_b32_e32 v3, 5, v0
	s_not_b64 s[4:5], s[4:5]
	s_delay_alu instid0(VALU_DEP_1) | instskip(SKIP_4) | instid1(VALU_DEP_1)
	v_lshlrev_b32_e32 v13, 2, v3
	s_waitcnt lgkmcnt(0)
	s_add_u32 s12, s4, s2
	s_addc_u32 s13, s5, s3
	v_sub_co_u32 v1, s2, s12, v3
	v_sub_co_ci_u32_e64 v2, null, s13, 0, s2
	v_mov_b32_e32 v3, 0
	s_mov_b32 s2, exec_lo
	ds_store_b32 v13, v3
	s_waitcnt lgkmcnt(0)
	s_barrier
	buffer_gl0_inv
	v_cmpx_lt_i64_e32 -1, v[1:2]
	s_cbranch_execz .LBB14_32
; %bb.1:
	s_clause 0x1
	s_load_b64 s[2:3], s[0:1], 0x8
	s_load_b128 s[8:11], s[0:1], 0x18
	v_lshlrev_b64 v[3:4], 3, v[1:2]
	v_and_b32_e32 v0, 31, v0
	s_mov_b32 s4, exec_lo
	s_delay_alu instid0(VALU_DEP_1)
	v_cmpx_eq_u32_e32 0, v0
	s_cbranch_execz .LBB14_3
; %bb.2:
	v_mov_b32_e32 v5, -1
	s_waitcnt lgkmcnt(0)
	v_add_co_u32 v7, vcc_lo, s8, v3
	v_add_co_ci_u32_e32 v8, vcc_lo, s9, v4, vcc_lo
	s_delay_alu instid0(VALU_DEP_3)
	v_mov_b32_e32 v6, v5
	global_store_b64 v[7:8], v[5:6], off
.LBB14_3:
	s_or_b32 exec_lo, exec_lo, s4
	s_waitcnt lgkmcnt(0)
	v_add_co_u32 v5, vcc_lo, s2, v3
	v_add_co_ci_u32_e32 v6, vcc_lo, s3, v4, vcc_lo
	s_clause 0x1
	s_load_b64 s[2:3], s[0:1], 0x38
	s_load_b128 s[4:7], s[0:1], 0x28
	v_not_b32_e32 v9, v0
	global_load_b128 v[5:8], v[5:6], off
	s_mov_b32 s15, 0
	s_mov_b32 s16, -1
	s_mov_b32 s14, exec_lo
	v_ashrrev_i32_e32 v10, 31, v9
	v_mov_b32_e32 v16, 0
	s_waitcnt vmcnt(0) lgkmcnt(0)
	v_sub_co_u32 v14, vcc_lo, v7, s2
	v_subrev_co_ci_u32_e32 v15, vcc_lo, 0, v8, vcc_lo
	v_sub_co_u32 v5, vcc_lo, v5, s2
	v_subrev_co_ci_u32_e32 v6, vcc_lo, 0, v6, vcc_lo
	s_delay_alu instid0(VALU_DEP_4) | instskip(NEXT) | instid1(VALU_DEP_4)
	v_add_co_u32 v7, vcc_lo, v14, v9
	v_add_co_ci_u32_e32 v8, vcc_lo, v15, v10, vcc_lo
	v_mov_b32_e32 v9, -1
	v_mov_b32_e32 v10, -1
	s_delay_alu instid0(VALU_DEP_3)
	v_cmpx_ge_i64_e64 v[7:8], v[5:6]
	s_cbranch_execz .LBB14_13
; %bb.4:
	s_load_b64 s[0:1], s[0:1], 0x10
	v_mov_b32_e32 v16, 0
                                        ; implicit-def: $sgpr16
                                        ; implicit-def: $sgpr18
                                        ; implicit-def: $sgpr17
	s_branch .LBB14_7
.LBB14_5:                               ;   in Loop: Header=BB14_7 Depth=1
	s_or_b32 exec_lo, exec_lo, s20
	v_add_co_u32 v7, vcc_lo, 0xffffffe0, v7
	v_add_co_ci_u32_e32 v8, vcc_lo, -1, v8, vcc_lo
	v_max_i32_e32 v16, v17, v16
	s_and_not1_b32 s18, s18, exec_lo
	s_or_b32 s17, s17, exec_lo
	s_delay_alu instid0(VALU_DEP_2) | instskip(SKIP_1) | instid1(SALU_CYCLE_1)
	v_cmp_lt_i64_e32 vcc_lo, v[7:8], v[5:6]
	s_and_b32 s20, vcc_lo, exec_lo
	s_or_b32 s18, s18, s20
.LBB14_6:                               ;   in Loop: Header=BB14_7 Depth=1
	s_or_b32 exec_lo, exec_lo, s19
	s_delay_alu instid0(SALU_CYCLE_1) | instskip(NEXT) | instid1(SALU_CYCLE_1)
	s_and_b32 s19, exec_lo, s18
	s_or_b32 s15, s19, s15
	s_and_not1_b32 s16, s16, exec_lo
	s_and_b32 s19, s17, exec_lo
	s_delay_alu instid0(SALU_CYCLE_1)
	s_or_b32 s16, s16, s19
	s_and_not1_b32 exec_lo, exec_lo, s15
	s_cbranch_execz .LBB14_12
.LBB14_7:                               ; =>This Loop Header: Depth=1
                                        ;     Child Loop BB14_10 Depth 2
	v_lshlrev_b64 v[9:10], 3, v[7:8]
	s_and_not1_b32 s17, s17, exec_lo
	s_or_b32 s18, s18, exec_lo
	s_mov_b32 s19, exec_lo
	s_waitcnt lgkmcnt(0)
	s_delay_alu instid0(VALU_DEP_1)
	v_add_co_u32 v9, vcc_lo, s0, v9
	v_add_co_ci_u32_e32 v10, vcc_lo, s1, v10, vcc_lo
	global_load_b64 v[9:10], v[9:10], off slc dlc
	s_waitcnt vmcnt(0)
	v_sub_co_u32 v9, vcc_lo, v9, s2
	v_subrev_co_ci_u32_e32 v10, vcc_lo, 0, v10, vcc_lo
	s_delay_alu instid0(VALU_DEP_1)
	v_cmpx_lt_i64_e64 s[12:13], v[9:10]
	s_cbranch_execz .LBB14_6
; %bb.8:                                ;   in Loop: Header=BB14_7 Depth=1
	v_lshlrev_b64 v[11:12], 2, v[9:10]
	s_mov_b32 s20, exec_lo
	s_delay_alu instid0(VALU_DEP_1) | instskip(NEXT) | instid1(VALU_DEP_2)
	v_add_co_u32 v11, vcc_lo, s10, v11
	v_add_co_ci_u32_e32 v12, vcc_lo, s11, v12, vcc_lo
	global_load_b32 v17, v[11:12], off glc
	s_waitcnt vmcnt(0)
	v_cmpx_eq_u32_e32 0, v17
	s_cbranch_execz .LBB14_5
; %bb.9:                                ;   in Loop: Header=BB14_7 Depth=1
	s_mov_b32 s21, 0
.LBB14_10:                              ;   Parent Loop BB14_7 Depth=1
                                        ; =>  This Inner Loop Header: Depth=2
	global_load_b32 v17, v[11:12], off glc
	s_waitcnt vmcnt(0)
	v_cmp_ne_u32_e32 vcc_lo, 0, v17
	s_or_b32 s21, vcc_lo, s21
	s_delay_alu instid0(SALU_CYCLE_1)
	s_and_not1_b32 exec_lo, exec_lo, s21
	s_cbranch_execnz .LBB14_10
; %bb.11:                               ;   in Loop: Header=BB14_7 Depth=1
	s_or_b32 exec_lo, exec_lo, s21
	s_branch .LBB14_5
.LBB14_12:
	s_or_b32 exec_lo, exec_lo, s15
	s_delay_alu instid0(SALU_CYCLE_1)
	s_or_not1_b32 s16, s16, exec_lo
.LBB14_13:
	s_or_b32 exec_lo, exec_lo, s14
	s_xor_b32 s1, s16, -1
	s_delay_alu instid0(SALU_CYCLE_1)
	s_and_saveexec_b32 s0, s1
	s_cbranch_execz .LBB14_22
; %bb.14:
	s_mov_b32 s1, exec_lo
	v_cmpx_eq_u64_e64 v[9:10], v[1:2]
	s_cbranch_execz .LBB14_16
; %bb.15:
	v_add_co_u32 v11, vcc_lo, s8, v3
	v_add_co_ci_u32_e32 v12, vcc_lo, s9, v4, vcc_lo
	global_store_b64 v[11:12], v[7:8], off
.LBB14_16:
	s_or_b32 exec_lo, exec_lo, s1
	s_delay_alu instid0(SALU_CYCLE_1)
	s_mov_b32 s1, exec_lo
	v_cmpx_gt_i64_e64 v[9:10], v[1:2]
	s_cbranch_execz .LBB14_21
; %bb.17:
	v_sub_nc_u32_e32 v7, s12, v9
	s_mov_b32 s13, 0
	s_mov_b32 s12, exec_lo
	s_delay_alu instid0(VALU_DEP_1)
	v_lshlrev_b32_e32 v8, 2, v7
	ds_load_b32 v7, v8
	s_waitcnt lgkmcnt(0)
	v_cmpx_eq_u32_e32 0, v7
	s_cbranch_execz .LBB14_20
.LBB14_18:                              ; =>This Inner Loop Header: Depth=1
	ds_load_b32 v7, v8
	s_waitcnt lgkmcnt(0)
	v_cmp_ne_u32_e32 vcc_lo, 0, v7
	s_or_b32 s13, vcc_lo, s13
	s_delay_alu instid0(SALU_CYCLE_1)
	s_and_not1_b32 exec_lo, exec_lo, s13
	s_cbranch_execnz .LBB14_18
; %bb.19:
	s_or_b32 exec_lo, exec_lo, s13
.LBB14_20:
	s_delay_alu instid0(SALU_CYCLE_1)
	s_or_b32 exec_lo, exec_lo, s12
	v_max_i32_e32 v16, v7, v16
.LBB14_21:
	s_or_b32 exec_lo, exec_lo, s1
.LBB14_22:
	s_delay_alu instid0(SALU_CYCLE_1)
	s_or_b32 exec_lo, exec_lo, s0
	v_mbcnt_lo_u32_b32 v7, -1, 0
	s_waitcnt_vscnt null, 0x0
	buffer_gl0_inv
	v_xor_b32_e32 v8, 16, v7
	v_xor_b32_e32 v9, 8, v7
	;; [unrolled: 1-line block ×3, first 2 shown]
	s_delay_alu instid0(VALU_DEP_3) | instskip(SKIP_1) | instid1(VALU_DEP_4)
	v_cmp_gt_i32_e32 vcc_lo, 32, v8
	v_cndmask_b32_e32 v8, v7, v8, vcc_lo
	v_cmp_gt_i32_e32 vcc_lo, 32, v9
	v_cndmask_b32_e32 v9, v7, v9, vcc_lo
	;; [unrolled: 2-line block ×3, first 2 shown]
	s_delay_alu instid0(VALU_DEP_1) | instskip(NEXT) | instid1(VALU_DEP_4)
	v_lshlrev_b32_e32 v10, 2, v10
	v_lshlrev_b32_e32 v9, 2, v9
	;; [unrolled: 1-line block ×3, first 2 shown]
	ds_bpermute_b32 v8, v8, v16
	s_waitcnt lgkmcnt(0)
	v_max_i32_e32 v8, v16, v8
	ds_bpermute_b32 v9, v9, v8
	s_waitcnt lgkmcnt(0)
	v_max_i32_e32 v8, v8, v9
	ds_bpermute_b32 v9, v10, v8
	v_xor_b32_e32 v10, 2, v7
	s_delay_alu instid0(VALU_DEP_1) | instskip(SKIP_1) | instid1(VALU_DEP_1)
	v_cmp_gt_i32_e32 vcc_lo, 32, v10
	v_cndmask_b32_e32 v10, v7, v10, vcc_lo
	v_lshlrev_b32_e32 v10, 2, v10
	s_waitcnt lgkmcnt(0)
	v_max_i32_e32 v8, v8, v9
	ds_bpermute_b32 v9, v10, v8
	v_xor_b32_e32 v10, 1, v7
	s_delay_alu instid0(VALU_DEP_1) | instskip(SKIP_4) | instid1(VALU_DEP_3)
	v_cmp_gt_i32_e32 vcc_lo, 32, v10
	v_cndmask_b32_e32 v10, v7, v10, vcc_lo
	v_cmp_eq_u32_e32 vcc_lo, 31, v0
	s_waitcnt lgkmcnt(0)
	v_max_i32_e32 v7, v8, v9
	v_lshlrev_b32_e32 v8, 2, v10
	ds_bpermute_b32 v8, v8, v7
	s_and_b32 exec_lo, exec_lo, vcc_lo
	s_cbranch_execz .LBB14_32
; %bb.23:
	s_waitcnt lgkmcnt(0)
	v_max_i32_e32 v0, v7, v8
	v_lshlrev_b64 v[7:8], 2, v[1:2]
	s_mov_b32 s12, exec_lo
	s_mov_b64 s[0:1], 0
	s_delay_alu instid0(VALU_DEP_2) | instskip(NEXT) | instid1(VALU_DEP_2)
	v_add_nc_u32_e32 v9, 1, v0
	v_add_co_u32 v7, vcc_lo, s10, v7
	s_delay_alu instid0(VALU_DEP_3)
	v_add_co_ci_u32_e32 v8, vcc_lo, s11, v8, vcc_lo
	v_sub_co_u32 v0, vcc_lo, v14, v5
	v_sub_co_ci_u32_e32 v5, vcc_lo, v15, v6, vcc_lo
	ds_store_b32 v13, v9
	global_store_b32 v[7:8], v9, off
.LBB14_24:                              ; =>This Inner Loop Header: Depth=1
	s_ctz_i32_b32 s13, s12
	s_delay_alu instid0(SALU_CYCLE_1) | instskip(SKIP_1) | instid1(VALU_DEP_1)
	v_readlane_b32 s11, v5, s13
	v_readlane_b32 s10, v0, s13
	v_cmp_gt_u64_e64 s14, s[0:1], s[10:11]
	s_delay_alu instid0(VALU_DEP_1) | instskip(SKIP_3) | instid1(SALU_CYCLE_1)
	s_and_b32 s14, s14, exec_lo
	s_cselect_b32 s1, s1, s11
	s_cselect_b32 s0, s0, s10
	s_lshl_b32 s10, 1, s13
	s_and_not1_b32 s12, s12, s10
	s_delay_alu instid0(SALU_CYCLE_1)
	s_cmp_lg_u32 s12, 0
	s_cbranch_scc1 .LBB14_24
; %bb.25:
	v_mbcnt_lo_u32_b32 v0, exec_lo, 0
	s_mov_b32 s10, exec_lo
	s_delay_alu instid0(VALU_DEP_1)
	v_cmpx_eq_u32_e32 0, v0
	s_xor_b32 s10, exec_lo, s10
	s_cbranch_execz .LBB14_27
; %bb.26:
	v_mov_b32_e32 v6, s1
	v_dual_mov_b32 v0, 0 :: v_dual_mov_b32 v5, s0
	global_atomic_max_u64 v0, v[5:6], s[4:5]
.LBB14_27:
	s_or_b32 exec_lo, exec_lo, s10
	v_add_co_u32 v3, vcc_lo, s8, v3
	v_add_co_ci_u32_e32 v4, vcc_lo, s9, v4, vcc_lo
	s_cmp_eq_u32 s3, 0
	s_mov_b64 s[0:1], -1
	s_cselect_b32 s3, -1, 0
	global_load_b64 v[3:4], v[3:4], off
	s_waitcnt vmcnt(0)
	v_cmp_eq_u64_e32 vcc_lo, -1, v[3:4]
	s_and_b32 s3, s3, vcc_lo
	s_delay_alu instid0(SALU_CYCLE_1)
	s_and_b32 exec_lo, exec_lo, s3
	s_cbranch_execz .LBB14_32
; %bb.28:
	v_add_co_u32 v0, vcc_lo, v1, s2
	v_add_co_ci_u32_e32 v1, vcc_lo, 0, v2, vcc_lo
	s_mov_b32 s3, exec_lo
.LBB14_29:                              ; =>This Inner Loop Header: Depth=1
	s_delay_alu instid0(SALU_CYCLE_1)
	s_ctz_i32_b32 s2, s3
	s_delay_alu instid0(VALU_DEP_1) | instid1(SALU_CYCLE_1)
	v_readlane_b32 s5, v1, s2
	v_readlane_b32 s4, v0, s2
	s_delay_alu instid0(VALU_DEP_1) | instskip(NEXT) | instid1(VALU_DEP_1)
	v_cmp_lt_u64_e64 s8, s[0:1], s[4:5]
	s_and_b32 s8, s8, exec_lo
	s_cselect_b32 s1, s1, s5
	s_cselect_b32 s0, s0, s4
	s_lshl_b32 s2, 1, s2
	s_delay_alu instid0(SALU_CYCLE_1) | instskip(NEXT) | instid1(SALU_CYCLE_1)
	s_and_not1_b32 s3, s3, s2
	s_cmp_lg_u32 s3, 0
	s_cbranch_scc1 .LBB14_29
; %bb.30:
	v_mbcnt_lo_u32_b32 v0, exec_lo, 0
	s_mov_b32 s2, exec_lo
	s_delay_alu instid0(VALU_DEP_1)
	v_cmpx_eq_u32_e32 0, v0
	s_xor_b32 s2, exec_lo, s2
	s_cbranch_execz .LBB14_32
; %bb.31:
	v_mov_b32_e32 v0, s0
	v_dual_mov_b32 v2, 0 :: v_dual_mov_b32 v1, s1
	global_atomic_min_u64 v2, v[0:1], s[6:7]
.LBB14_32:
	s_nop 0
	s_sendmsg sendmsg(MSG_DEALLOC_VGPRS)
	s_endpgm
	.section	.rodata,"a",@progbits
	.p2align	6, 0x0
	.amdhsa_kernel _ZN9rocsparseL27csrsv_analysis_upper_kernelILj1024ELj32ELb0EllEEvT3_PKT2_PKS1_PS2_PiS7_PS1_21rocsparse_index_base_20rocsparse_diag_type_
		.amdhsa_group_segment_fixed_size 128
		.amdhsa_private_segment_fixed_size 0
		.amdhsa_kernarg_size 64
		.amdhsa_user_sgpr_count 15
		.amdhsa_user_sgpr_dispatch_ptr 0
		.amdhsa_user_sgpr_queue_ptr 0
		.amdhsa_user_sgpr_kernarg_segment_ptr 1
		.amdhsa_user_sgpr_dispatch_id 0
		.amdhsa_user_sgpr_private_segment_size 0
		.amdhsa_wavefront_size32 1
		.amdhsa_uses_dynamic_stack 0
		.amdhsa_enable_private_segment 0
		.amdhsa_system_sgpr_workgroup_id_x 1
		.amdhsa_system_sgpr_workgroup_id_y 0
		.amdhsa_system_sgpr_workgroup_id_z 0
		.amdhsa_system_sgpr_workgroup_info 0
		.amdhsa_system_vgpr_workitem_id 0
		.amdhsa_next_free_vgpr 18
		.amdhsa_next_free_sgpr 22
		.amdhsa_reserve_vcc 1
		.amdhsa_float_round_mode_32 0
		.amdhsa_float_round_mode_16_64 0
		.amdhsa_float_denorm_mode_32 3
		.amdhsa_float_denorm_mode_16_64 3
		.amdhsa_dx10_clamp 1
		.amdhsa_ieee_mode 1
		.amdhsa_fp16_overflow 0
		.amdhsa_workgroup_processor_mode 1
		.amdhsa_memory_ordered 1
		.amdhsa_forward_progress 0
		.amdhsa_shared_vgpr_count 0
		.amdhsa_exception_fp_ieee_invalid_op 0
		.amdhsa_exception_fp_denorm_src 0
		.amdhsa_exception_fp_ieee_div_zero 0
		.amdhsa_exception_fp_ieee_overflow 0
		.amdhsa_exception_fp_ieee_underflow 0
		.amdhsa_exception_fp_ieee_inexact 0
		.amdhsa_exception_int_div_zero 0
	.end_amdhsa_kernel
	.section	.text._ZN9rocsparseL27csrsv_analysis_upper_kernelILj1024ELj32ELb0EllEEvT3_PKT2_PKS1_PS2_PiS7_PS1_21rocsparse_index_base_20rocsparse_diag_type_,"axG",@progbits,_ZN9rocsparseL27csrsv_analysis_upper_kernelILj1024ELj32ELb0EllEEvT3_PKT2_PKS1_PS2_PiS7_PS1_21rocsparse_index_base_20rocsparse_diag_type_,comdat
.Lfunc_end14:
	.size	_ZN9rocsparseL27csrsv_analysis_upper_kernelILj1024ELj32ELb0EllEEvT3_PKT2_PKS1_PS2_PiS7_PS1_21rocsparse_index_base_20rocsparse_diag_type_, .Lfunc_end14-_ZN9rocsparseL27csrsv_analysis_upper_kernelILj1024ELj32ELb0EllEEvT3_PKT2_PKS1_PS2_PiS7_PS1_21rocsparse_index_base_20rocsparse_diag_type_
                                        ; -- End function
	.section	.AMDGPU.csdata,"",@progbits
; Kernel info:
; codeLenInByte = 1392
; NumSgprs: 24
; NumVgprs: 18
; ScratchSize: 0
; MemoryBound: 0
; FloatMode: 240
; IeeeMode: 1
; LDSByteSize: 128 bytes/workgroup (compile time only)
; SGPRBlocks: 2
; VGPRBlocks: 2
; NumSGPRsForWavesPerEU: 24
; NumVGPRsForWavesPerEU: 18
; Occupancy: 16
; WaveLimiterHint : 1
; COMPUTE_PGM_RSRC2:SCRATCH_EN: 0
; COMPUTE_PGM_RSRC2:USER_SGPR: 15
; COMPUTE_PGM_RSRC2:TRAP_HANDLER: 0
; COMPUTE_PGM_RSRC2:TGID_X_EN: 1
; COMPUTE_PGM_RSRC2:TGID_Y_EN: 0
; COMPUTE_PGM_RSRC2:TGID_Z_EN: 0
; COMPUTE_PGM_RSRC2:TIDIG_COMP_CNT: 0
	.section	.text._ZN9rocsparseL27csrsv_analysis_lower_kernelILj1024ELj32ELb0EllEEvT3_PKT2_PKS1_PS2_PiS7_PS1_21rocsparse_index_base_20rocsparse_diag_type_,"axG",@progbits,_ZN9rocsparseL27csrsv_analysis_lower_kernelILj1024ELj32ELb0EllEEvT3_PKT2_PKS1_PS2_PiS7_PS1_21rocsparse_index_base_20rocsparse_diag_type_,comdat
	.globl	_ZN9rocsparseL27csrsv_analysis_lower_kernelILj1024ELj32ELb0EllEEvT3_PKT2_PKS1_PS2_PiS7_PS1_21rocsparse_index_base_20rocsparse_diag_type_ ; -- Begin function _ZN9rocsparseL27csrsv_analysis_lower_kernelILj1024ELj32ELb0EllEEvT3_PKT2_PKS1_PS2_PiS7_PS1_21rocsparse_index_base_20rocsparse_diag_type_
	.p2align	8
	.type	_ZN9rocsparseL27csrsv_analysis_lower_kernelILj1024ELj32ELb0EllEEvT3_PKT2_PKS1_PS2_PiS7_PS1_21rocsparse_index_base_20rocsparse_diag_type_,@function
_ZN9rocsparseL27csrsv_analysis_lower_kernelILj1024ELj32ELb0EllEEvT3_PKT2_PKS1_PS2_PiS7_PS1_21rocsparse_index_base_20rocsparse_diag_type_: ; @_ZN9rocsparseL27csrsv_analysis_lower_kernelILj1024ELj32ELb0EllEEvT3_PKT2_PKS1_PS2_PiS7_PS1_21rocsparse_index_base_20rocsparse_diag_type_
; %bb.0:
	s_load_b64 s[2:3], s[0:1], 0x0
	v_lshrrev_b32_e32 v3, 5, v0
	s_lshl_b32 s12, s15, 5
	s_delay_alu instid0(VALU_DEP_1)
	v_dual_mov_b32 v2, 0 :: v_dual_lshlrev_b32 v13, 2, v3
	v_or_b32_e32 v1, s12, v3
	ds_store_b32 v13, v2
	s_waitcnt lgkmcnt(0)
	s_barrier
	buffer_gl0_inv
	v_cmp_gt_i64_e32 vcc_lo, s[2:3], v[1:2]
	s_and_saveexec_b32 s2, vcc_lo
	s_cbranch_execz .LBB15_32
; %bb.1:
	s_clause 0x1
	s_load_b64 s[2:3], s[0:1], 0x8
	s_load_b128 s[8:11], s[0:1], 0x18
	v_lshlrev_b64 v[3:4], 3, v[1:2]
	v_and_b32_e32 v0, 31, v0
	s_mov_b32 s13, 0
	s_mov_b32 s4, exec_lo
	s_delay_alu instid0(VALU_DEP_1)
	v_cmpx_eq_u32_e32 0, v0
	s_cbranch_execz .LBB15_3
; %bb.2:
	v_mov_b32_e32 v5, -1
	s_waitcnt lgkmcnt(0)
	v_add_co_u32 v7, vcc_lo, s8, v3
	v_add_co_ci_u32_e32 v8, vcc_lo, s9, v4, vcc_lo
	s_delay_alu instid0(VALU_DEP_3)
	v_mov_b32_e32 v6, v5
	global_store_b64 v[7:8], v[5:6], off
.LBB15_3:
	s_or_b32 exec_lo, exec_lo, s4
	s_waitcnt lgkmcnt(0)
	v_add_co_u32 v5, vcc_lo, s2, v3
	v_add_co_ci_u32_e32 v6, vcc_lo, s3, v4, vcc_lo
	v_dual_mov_b32 v9, -1 :: v_dual_mov_b32 v16, 0
	v_mov_b32_e32 v10, -1
	global_load_b128 v[5:8], v[5:6], off
	s_clause 0x1
	s_load_b64 s[2:3], s[0:1], 0x38
	s_load_b128 s[4:7], s[0:1], 0x28
	s_mov_b32 s14, exec_lo
	s_waitcnt vmcnt(0) lgkmcnt(0)
	v_sub_co_u32 v14, vcc_lo, v5, s2
	v_subrev_co_ci_u32_e32 v15, vcc_lo, 0, v6, vcc_lo
	v_sub_co_u32 v5, vcc_lo, v7, s2
	v_subrev_co_ci_u32_e32 v6, vcc_lo, 0, v8, vcc_lo
	s_delay_alu instid0(VALU_DEP_4) | instskip(NEXT) | instid1(VALU_DEP_4)
	v_add_co_u32 v7, vcc_lo, v14, v0
	v_add_co_ci_u32_e32 v8, vcc_lo, 0, v15, vcc_lo
	s_delay_alu instid0(VALU_DEP_1)
	v_cmpx_lt_i64_e64 v[7:8], v[5:6]
	s_cbranch_execz .LBB15_13
; %bb.4:
	s_load_b64 s[0:1], s[0:1], 0x10
	v_mov_b32_e32 v16, 0
	s_mov_b32 s15, 0
                                        ; implicit-def: $sgpr16
                                        ; implicit-def: $sgpr18
                                        ; implicit-def: $sgpr17
	s_branch .LBB15_7
.LBB15_5:                               ;   in Loop: Header=BB15_7 Depth=1
	s_or_b32 exec_lo, exec_lo, s20
	v_add_co_u32 v7, vcc_lo, v7, 32
	v_add_co_ci_u32_e32 v8, vcc_lo, 0, v8, vcc_lo
	v_max_i32_e32 v16, v17, v16
	s_and_not1_b32 s18, s18, exec_lo
	s_and_not1_b32 s17, s17, exec_lo
	s_delay_alu instid0(VALU_DEP_2) | instskip(SKIP_1) | instid1(SALU_CYCLE_1)
	v_cmp_ge_i64_e32 vcc_lo, v[7:8], v[5:6]
	s_and_b32 s20, vcc_lo, exec_lo
	s_or_b32 s18, s18, s20
.LBB15_6:                               ;   in Loop: Header=BB15_7 Depth=1
	s_or_b32 exec_lo, exec_lo, s19
	s_delay_alu instid0(SALU_CYCLE_1) | instskip(NEXT) | instid1(SALU_CYCLE_1)
	s_and_b32 s19, exec_lo, s18
	s_or_b32 s15, s19, s15
	s_and_not1_b32 s16, s16, exec_lo
	s_and_b32 s19, s17, exec_lo
	s_delay_alu instid0(SALU_CYCLE_1)
	s_or_b32 s16, s16, s19
	s_and_not1_b32 exec_lo, exec_lo, s15
	s_cbranch_execz .LBB15_12
.LBB15_7:                               ; =>This Loop Header: Depth=1
                                        ;     Child Loop BB15_10 Depth 2
	v_lshlrev_b64 v[9:10], 3, v[7:8]
	s_or_b32 s17, s17, exec_lo
	s_or_b32 s18, s18, exec_lo
	s_mov_b32 s19, exec_lo
	s_waitcnt lgkmcnt(0)
	s_delay_alu instid0(VALU_DEP_1)
	v_add_co_u32 v9, vcc_lo, s0, v9
	v_add_co_ci_u32_e32 v10, vcc_lo, s1, v10, vcc_lo
	global_load_b64 v[9:10], v[9:10], off slc dlc
	s_waitcnt vmcnt(0)
	v_sub_co_u32 v9, vcc_lo, v9, s2
	v_subrev_co_ci_u32_e32 v10, vcc_lo, 0, v10, vcc_lo
	s_delay_alu instid0(VALU_DEP_1)
	v_cmpx_gt_i64_e64 s[12:13], v[9:10]
	s_cbranch_execz .LBB15_6
; %bb.8:                                ;   in Loop: Header=BB15_7 Depth=1
	v_lshlrev_b64 v[11:12], 2, v[9:10]
	s_mov_b32 s20, exec_lo
	s_delay_alu instid0(VALU_DEP_1) | instskip(NEXT) | instid1(VALU_DEP_2)
	v_add_co_u32 v11, vcc_lo, s10, v11
	v_add_co_ci_u32_e32 v12, vcc_lo, s11, v12, vcc_lo
	global_load_b32 v17, v[11:12], off glc
	s_waitcnt vmcnt(0)
	v_cmpx_eq_u32_e32 0, v17
	s_cbranch_execz .LBB15_5
; %bb.9:                                ;   in Loop: Header=BB15_7 Depth=1
	s_mov_b32 s21, 0
.LBB15_10:                              ;   Parent Loop BB15_7 Depth=1
                                        ; =>  This Inner Loop Header: Depth=2
	global_load_b32 v17, v[11:12], off glc
	s_waitcnt vmcnt(0)
	v_cmp_ne_u32_e32 vcc_lo, 0, v17
	s_or_b32 s21, vcc_lo, s21
	s_delay_alu instid0(SALU_CYCLE_1)
	s_and_not1_b32 exec_lo, exec_lo, s21
	s_cbranch_execnz .LBB15_10
; %bb.11:                               ;   in Loop: Header=BB15_7 Depth=1
	s_or_b32 exec_lo, exec_lo, s21
	s_branch .LBB15_5
.LBB15_12:
	s_or_b32 exec_lo, exec_lo, s15
	s_delay_alu instid0(SALU_CYCLE_1)
	s_and_b32 s13, s16, exec_lo
.LBB15_13:
	s_or_b32 exec_lo, exec_lo, s14
	s_and_saveexec_b32 s0, s13
	s_cbranch_execz .LBB15_22
; %bb.14:
	s_mov_b32 s1, exec_lo
	v_cmpx_eq_u64_e64 v[9:10], v[1:2]
	s_cbranch_execz .LBB15_16
; %bb.15:
	v_add_co_u32 v11, vcc_lo, s8, v3
	v_add_co_ci_u32_e32 v12, vcc_lo, s9, v4, vcc_lo
	global_store_b64 v[11:12], v[7:8], off
.LBB15_16:
	s_or_b32 exec_lo, exec_lo, s1
	s_delay_alu instid0(SALU_CYCLE_1)
	s_mov_b32 s1, exec_lo
	v_cmpx_lt_i64_e64 v[9:10], v[1:2]
	s_cbranch_execz .LBB15_21
; %bb.17:
	v_subrev_nc_u32_e32 v7, s12, v9
	s_mov_b32 s13, 0
	s_mov_b32 s12, exec_lo
	s_delay_alu instid0(VALU_DEP_1)
	v_lshlrev_b32_e32 v8, 2, v7
	ds_load_b32 v7, v8
	s_waitcnt lgkmcnt(0)
	v_cmpx_eq_u32_e32 0, v7
	s_cbranch_execz .LBB15_20
.LBB15_18:                              ; =>This Inner Loop Header: Depth=1
	ds_load_b32 v7, v8
	s_waitcnt lgkmcnt(0)
	v_cmp_ne_u32_e32 vcc_lo, 0, v7
	s_or_b32 s13, vcc_lo, s13
	s_delay_alu instid0(SALU_CYCLE_1)
	s_and_not1_b32 exec_lo, exec_lo, s13
	s_cbranch_execnz .LBB15_18
; %bb.19:
	s_or_b32 exec_lo, exec_lo, s13
.LBB15_20:
	s_delay_alu instid0(SALU_CYCLE_1)
	s_or_b32 exec_lo, exec_lo, s12
	v_max_i32_e32 v16, v7, v16
.LBB15_21:
	s_or_b32 exec_lo, exec_lo, s1
.LBB15_22:
	s_delay_alu instid0(SALU_CYCLE_1)
	s_or_b32 exec_lo, exec_lo, s0
	v_mbcnt_lo_u32_b32 v7, -1, 0
	s_waitcnt_vscnt null, 0x0
	buffer_gl0_inv
	v_xor_b32_e32 v8, 16, v7
	v_xor_b32_e32 v9, 8, v7
	v_xor_b32_e32 v10, 4, v7
	s_delay_alu instid0(VALU_DEP_3) | instskip(SKIP_1) | instid1(VALU_DEP_4)
	v_cmp_gt_i32_e32 vcc_lo, 32, v8
	v_cndmask_b32_e32 v8, v7, v8, vcc_lo
	v_cmp_gt_i32_e32 vcc_lo, 32, v9
	v_cndmask_b32_e32 v9, v7, v9, vcc_lo
	;; [unrolled: 2-line block ×3, first 2 shown]
	s_delay_alu instid0(VALU_DEP_1) | instskip(NEXT) | instid1(VALU_DEP_4)
	v_lshlrev_b32_e32 v10, 2, v10
	v_lshlrev_b32_e32 v9, 2, v9
	;; [unrolled: 1-line block ×3, first 2 shown]
	ds_bpermute_b32 v8, v8, v16
	s_waitcnt lgkmcnt(0)
	v_max_i32_e32 v8, v16, v8
	ds_bpermute_b32 v9, v9, v8
	s_waitcnt lgkmcnt(0)
	v_max_i32_e32 v8, v8, v9
	ds_bpermute_b32 v9, v10, v8
	v_xor_b32_e32 v10, 2, v7
	s_delay_alu instid0(VALU_DEP_1) | instskip(SKIP_1) | instid1(VALU_DEP_1)
	v_cmp_gt_i32_e32 vcc_lo, 32, v10
	v_cndmask_b32_e32 v10, v7, v10, vcc_lo
	v_lshlrev_b32_e32 v10, 2, v10
	s_waitcnt lgkmcnt(0)
	v_max_i32_e32 v8, v8, v9
	ds_bpermute_b32 v9, v10, v8
	v_xor_b32_e32 v10, 1, v7
	s_delay_alu instid0(VALU_DEP_1) | instskip(SKIP_4) | instid1(VALU_DEP_3)
	v_cmp_gt_i32_e32 vcc_lo, 32, v10
	v_cndmask_b32_e32 v10, v7, v10, vcc_lo
	v_cmp_eq_u32_e32 vcc_lo, 31, v0
	s_waitcnt lgkmcnt(0)
	v_max_i32_e32 v7, v8, v9
	v_lshlrev_b32_e32 v8, 2, v10
	ds_bpermute_b32 v8, v8, v7
	s_and_b32 exec_lo, exec_lo, vcc_lo
	s_cbranch_execz .LBB15_32
; %bb.23:
	s_waitcnt lgkmcnt(0)
	v_max_i32_e32 v0, v7, v8
	v_lshlrev_b64 v[7:8], 2, v[1:2]
	s_mov_b32 s12, exec_lo
	s_mov_b64 s[0:1], 0
	s_delay_alu instid0(VALU_DEP_2) | instskip(NEXT) | instid1(VALU_DEP_2)
	v_add_nc_u32_e32 v9, 1, v0
	v_add_co_u32 v7, vcc_lo, s10, v7
	s_delay_alu instid0(VALU_DEP_3)
	v_add_co_ci_u32_e32 v8, vcc_lo, s11, v8, vcc_lo
	v_sub_co_u32 v0, vcc_lo, v5, v14
	v_sub_co_ci_u32_e32 v2, vcc_lo, v6, v15, vcc_lo
	ds_store_b32 v13, v9
	global_store_b32 v[7:8], v9, off
.LBB15_24:                              ; =>This Inner Loop Header: Depth=1
	s_ctz_i32_b32 s13, s12
	s_delay_alu instid0(SALU_CYCLE_1) | instskip(SKIP_1) | instid1(VALU_DEP_1)
	v_readlane_b32 s11, v2, s13
	v_readlane_b32 s10, v0, s13
	v_cmp_gt_u64_e64 s14, s[0:1], s[10:11]
	s_delay_alu instid0(VALU_DEP_1) | instskip(SKIP_3) | instid1(SALU_CYCLE_1)
	s_and_b32 s14, s14, exec_lo
	s_cselect_b32 s1, s1, s11
	s_cselect_b32 s0, s0, s10
	s_lshl_b32 s10, 1, s13
	s_and_not1_b32 s12, s12, s10
	s_delay_alu instid0(SALU_CYCLE_1)
	s_cmp_lg_u32 s12, 0
	s_cbranch_scc1 .LBB15_24
; %bb.25:
	v_mbcnt_lo_u32_b32 v0, exec_lo, 0
	s_mov_b32 s10, exec_lo
	s_delay_alu instid0(VALU_DEP_1)
	v_cmpx_eq_u32_e32 0, v0
	s_xor_b32 s10, exec_lo, s10
	s_cbranch_execz .LBB15_27
; %bb.26:
	v_mov_b32_e32 v6, s1
	v_dual_mov_b32 v0, 0 :: v_dual_mov_b32 v5, s0
	global_atomic_max_u64 v0, v[5:6], s[4:5]
.LBB15_27:
	s_or_b32 exec_lo, exec_lo, s10
	v_add_co_u32 v2, vcc_lo, s8, v3
	v_add_co_ci_u32_e32 v3, vcc_lo, s9, v4, vcc_lo
	s_cmp_eq_u32 s3, 0
	s_mov_b64 s[0:1], -1
	s_cselect_b32 s3, -1, 0
	global_load_b64 v[2:3], v[2:3], off
	s_waitcnt vmcnt(0)
	v_cmp_eq_u64_e32 vcc_lo, -1, v[2:3]
	s_and_b32 s3, s3, vcc_lo
	s_delay_alu instid0(SALU_CYCLE_1)
	s_and_b32 exec_lo, exec_lo, s3
	s_cbranch_execz .LBB15_32
; %bb.28:
	v_add_co_u32 v0, s2, s2, v1
	s_delay_alu instid0(VALU_DEP_1)
	v_add_co_ci_u32_e64 v1, null, 0, 0, s2
	s_mov_b32 s3, exec_lo
.LBB15_29:                              ; =>This Inner Loop Header: Depth=1
	s_delay_alu instid0(SALU_CYCLE_1)
	s_ctz_i32_b32 s2, s3
	s_delay_alu instid0(VALU_DEP_1) | instid1(SALU_CYCLE_1)
	v_readlane_b32 s5, v1, s2
	v_readlane_b32 s4, v0, s2
	s_delay_alu instid0(VALU_DEP_1) | instskip(NEXT) | instid1(VALU_DEP_1)
	v_cmp_lt_u64_e64 s8, s[0:1], s[4:5]
	s_and_b32 s8, s8, exec_lo
	s_cselect_b32 s1, s1, s5
	s_cselect_b32 s0, s0, s4
	s_lshl_b32 s2, 1, s2
	s_delay_alu instid0(SALU_CYCLE_1) | instskip(NEXT) | instid1(SALU_CYCLE_1)
	s_and_not1_b32 s3, s3, s2
	s_cmp_lg_u32 s3, 0
	s_cbranch_scc1 .LBB15_29
; %bb.30:
	v_mbcnt_lo_u32_b32 v0, exec_lo, 0
	s_mov_b32 s2, exec_lo
	s_delay_alu instid0(VALU_DEP_1)
	v_cmpx_eq_u32_e32 0, v0
	s_xor_b32 s2, exec_lo, s2
	s_cbranch_execz .LBB15_32
; %bb.31:
	v_mov_b32_e32 v0, s0
	v_dual_mov_b32 v2, 0 :: v_dual_mov_b32 v1, s1
	global_atomic_min_u64 v2, v[0:1], s[6:7]
.LBB15_32:
	s_nop 0
	s_sendmsg sendmsg(MSG_DEALLOC_VGPRS)
	s_endpgm
	.section	.rodata,"a",@progbits
	.p2align	6, 0x0
	.amdhsa_kernel _ZN9rocsparseL27csrsv_analysis_lower_kernelILj1024ELj32ELb0EllEEvT3_PKT2_PKS1_PS2_PiS7_PS1_21rocsparse_index_base_20rocsparse_diag_type_
		.amdhsa_group_segment_fixed_size 128
		.amdhsa_private_segment_fixed_size 0
		.amdhsa_kernarg_size 64
		.amdhsa_user_sgpr_count 15
		.amdhsa_user_sgpr_dispatch_ptr 0
		.amdhsa_user_sgpr_queue_ptr 0
		.amdhsa_user_sgpr_kernarg_segment_ptr 1
		.amdhsa_user_sgpr_dispatch_id 0
		.amdhsa_user_sgpr_private_segment_size 0
		.amdhsa_wavefront_size32 1
		.amdhsa_uses_dynamic_stack 0
		.amdhsa_enable_private_segment 0
		.amdhsa_system_sgpr_workgroup_id_x 1
		.amdhsa_system_sgpr_workgroup_id_y 0
		.amdhsa_system_sgpr_workgroup_id_z 0
		.amdhsa_system_sgpr_workgroup_info 0
		.amdhsa_system_vgpr_workitem_id 0
		.amdhsa_next_free_vgpr 18
		.amdhsa_next_free_sgpr 22
		.amdhsa_reserve_vcc 1
		.amdhsa_float_round_mode_32 0
		.amdhsa_float_round_mode_16_64 0
		.amdhsa_float_denorm_mode_32 3
		.amdhsa_float_denorm_mode_16_64 3
		.amdhsa_dx10_clamp 1
		.amdhsa_ieee_mode 1
		.amdhsa_fp16_overflow 0
		.amdhsa_workgroup_processor_mode 1
		.amdhsa_memory_ordered 1
		.amdhsa_forward_progress 0
		.amdhsa_shared_vgpr_count 0
		.amdhsa_exception_fp_ieee_invalid_op 0
		.amdhsa_exception_fp_denorm_src 0
		.amdhsa_exception_fp_ieee_div_zero 0
		.amdhsa_exception_fp_ieee_overflow 0
		.amdhsa_exception_fp_ieee_underflow 0
		.amdhsa_exception_fp_ieee_inexact 0
		.amdhsa_exception_int_div_zero 0
	.end_amdhsa_kernel
	.section	.text._ZN9rocsparseL27csrsv_analysis_lower_kernelILj1024ELj32ELb0EllEEvT3_PKT2_PKS1_PS2_PiS7_PS1_21rocsparse_index_base_20rocsparse_diag_type_,"axG",@progbits,_ZN9rocsparseL27csrsv_analysis_lower_kernelILj1024ELj32ELb0EllEEvT3_PKT2_PKS1_PS2_PiS7_PS1_21rocsparse_index_base_20rocsparse_diag_type_,comdat
.Lfunc_end15:
	.size	_ZN9rocsparseL27csrsv_analysis_lower_kernelILj1024ELj32ELb0EllEEvT3_PKT2_PKS1_PS2_PiS7_PS1_21rocsparse_index_base_20rocsparse_diag_type_, .Lfunc_end15-_ZN9rocsparseL27csrsv_analysis_lower_kernelILj1024ELj32ELb0EllEEvT3_PKT2_PKS1_PS2_PiS7_PS1_21rocsparse_index_base_20rocsparse_diag_type_
                                        ; -- End function
	.section	.AMDGPU.csdata,"",@progbits
; Kernel info:
; codeLenInByte = 1348
; NumSgprs: 24
; NumVgprs: 18
; ScratchSize: 0
; MemoryBound: 0
; FloatMode: 240
; IeeeMode: 1
; LDSByteSize: 128 bytes/workgroup (compile time only)
; SGPRBlocks: 2
; VGPRBlocks: 2
; NumSGPRsForWavesPerEU: 24
; NumVGPRsForWavesPerEU: 18
; Occupancy: 16
; WaveLimiterHint : 1
; COMPUTE_PGM_RSRC2:SCRATCH_EN: 0
; COMPUTE_PGM_RSRC2:USER_SGPR: 15
; COMPUTE_PGM_RSRC2:TRAP_HANDLER: 0
; COMPUTE_PGM_RSRC2:TGID_X_EN: 1
; COMPUTE_PGM_RSRC2:TGID_Y_EN: 0
; COMPUTE_PGM_RSRC2:TGID_Z_EN: 0
; COMPUTE_PGM_RSRC2:TIDIG_COMP_CNT: 0
	.section	.text._ZN9rocsparseL27csrsv_analysis_upper_kernelILj1024ELj64ELb0EllEEvT3_PKT2_PKS1_PS2_PiS7_PS1_21rocsparse_index_base_20rocsparse_diag_type_,"axG",@progbits,_ZN9rocsparseL27csrsv_analysis_upper_kernelILj1024ELj64ELb0EllEEvT3_PKT2_PKS1_PS2_PiS7_PS1_21rocsparse_index_base_20rocsparse_diag_type_,comdat
	.globl	_ZN9rocsparseL27csrsv_analysis_upper_kernelILj1024ELj64ELb0EllEEvT3_PKT2_PKS1_PS2_PiS7_PS1_21rocsparse_index_base_20rocsparse_diag_type_ ; -- Begin function _ZN9rocsparseL27csrsv_analysis_upper_kernelILj1024ELj64ELb0EllEEvT3_PKT2_PKS1_PS2_PiS7_PS1_21rocsparse_index_base_20rocsparse_diag_type_
	.p2align	8
	.type	_ZN9rocsparseL27csrsv_analysis_upper_kernelILj1024ELj64ELb0EllEEvT3_PKT2_PKS1_PS2_PiS7_PS1_21rocsparse_index_base_20rocsparse_diag_type_,@function
_ZN9rocsparseL27csrsv_analysis_upper_kernelILj1024ELj64ELb0EllEEvT3_PKT2_PKS1_PS2_PiS7_PS1_21rocsparse_index_base_20rocsparse_diag_type_: ; @_ZN9rocsparseL27csrsv_analysis_upper_kernelILj1024ELj64ELb0EllEEvT3_PKT2_PKS1_PS2_PiS7_PS1_21rocsparse_index_base_20rocsparse_diag_type_
; %bb.0:
	s_load_b64 s[2:3], s[0:1], 0x0
	s_mov_b32 s5, 0
	s_lshl_b32 s4, s15, 4
	v_lshrrev_b32_e32 v3, 6, v0
	s_not_b64 s[4:5], s[4:5]
	s_delay_alu instid0(VALU_DEP_1) | instskip(SKIP_4) | instid1(VALU_DEP_1)
	v_lshlrev_b32_e32 v13, 2, v3
	s_waitcnt lgkmcnt(0)
	s_add_u32 s12, s4, s2
	s_addc_u32 s13, s5, s3
	v_sub_co_u32 v1, s2, s12, v3
	v_sub_co_ci_u32_e64 v2, null, s13, 0, s2
	v_mov_b32_e32 v3, 0
	s_mov_b32 s2, exec_lo
	ds_store_b32 v13, v3
	s_waitcnt lgkmcnt(0)
	s_barrier
	buffer_gl0_inv
	v_cmpx_lt_i64_e32 -1, v[1:2]
	s_cbranch_execz .LBB16_32
; %bb.1:
	s_clause 0x1
	s_load_b64 s[2:3], s[0:1], 0x8
	s_load_b128 s[8:11], s[0:1], 0x18
	v_lshlrev_b64 v[3:4], 3, v[1:2]
	v_and_b32_e32 v0, 63, v0
	s_mov_b32 s4, exec_lo
	s_delay_alu instid0(VALU_DEP_1)
	v_cmpx_eq_u32_e32 0, v0
	s_cbranch_execz .LBB16_3
; %bb.2:
	v_mov_b32_e32 v5, -1
	s_waitcnt lgkmcnt(0)
	v_add_co_u32 v7, vcc_lo, s8, v3
	v_add_co_ci_u32_e32 v8, vcc_lo, s9, v4, vcc_lo
	s_delay_alu instid0(VALU_DEP_3)
	v_mov_b32_e32 v6, v5
	global_store_b64 v[7:8], v[5:6], off
.LBB16_3:
	s_or_b32 exec_lo, exec_lo, s4
	s_waitcnt lgkmcnt(0)
	v_add_co_u32 v5, vcc_lo, s2, v3
	v_add_co_ci_u32_e32 v6, vcc_lo, s3, v4, vcc_lo
	s_clause 0x1
	s_load_b64 s[2:3], s[0:1], 0x38
	s_load_b128 s[4:7], s[0:1], 0x28
	v_not_b32_e32 v9, v0
	global_load_b128 v[5:8], v[5:6], off
	s_mov_b32 s15, 0
	s_mov_b32 s16, -1
	s_mov_b32 s14, exec_lo
	v_ashrrev_i32_e32 v10, 31, v9
	v_mov_b32_e32 v16, 0
	s_waitcnt vmcnt(0) lgkmcnt(0)
	v_sub_co_u32 v14, vcc_lo, v7, s2
	v_subrev_co_ci_u32_e32 v15, vcc_lo, 0, v8, vcc_lo
	v_sub_co_u32 v5, vcc_lo, v5, s2
	v_subrev_co_ci_u32_e32 v6, vcc_lo, 0, v6, vcc_lo
	s_delay_alu instid0(VALU_DEP_4) | instskip(NEXT) | instid1(VALU_DEP_4)
	v_add_co_u32 v7, vcc_lo, v14, v9
	v_add_co_ci_u32_e32 v8, vcc_lo, v15, v10, vcc_lo
	v_mov_b32_e32 v9, -1
	v_mov_b32_e32 v10, -1
	s_delay_alu instid0(VALU_DEP_3)
	v_cmpx_ge_i64_e64 v[7:8], v[5:6]
	s_cbranch_execz .LBB16_13
; %bb.4:
	s_load_b64 s[0:1], s[0:1], 0x10
	v_mov_b32_e32 v16, 0
                                        ; implicit-def: $sgpr16
                                        ; implicit-def: $sgpr18
                                        ; implicit-def: $sgpr17
	s_branch .LBB16_7
.LBB16_5:                               ;   in Loop: Header=BB16_7 Depth=1
	s_or_b32 exec_lo, exec_lo, s20
	v_add_co_u32 v7, vcc_lo, 0xffffffc0, v7
	v_add_co_ci_u32_e32 v8, vcc_lo, -1, v8, vcc_lo
	v_max_i32_e32 v16, v17, v16
	s_and_not1_b32 s18, s18, exec_lo
	s_or_b32 s17, s17, exec_lo
	s_delay_alu instid0(VALU_DEP_2) | instskip(SKIP_1) | instid1(SALU_CYCLE_1)
	v_cmp_lt_i64_e32 vcc_lo, v[7:8], v[5:6]
	s_and_b32 s20, vcc_lo, exec_lo
	s_or_b32 s18, s18, s20
.LBB16_6:                               ;   in Loop: Header=BB16_7 Depth=1
	s_or_b32 exec_lo, exec_lo, s19
	s_delay_alu instid0(SALU_CYCLE_1) | instskip(NEXT) | instid1(SALU_CYCLE_1)
	s_and_b32 s19, exec_lo, s18
	s_or_b32 s15, s19, s15
	s_and_not1_b32 s16, s16, exec_lo
	s_and_b32 s19, s17, exec_lo
	s_delay_alu instid0(SALU_CYCLE_1)
	s_or_b32 s16, s16, s19
	s_and_not1_b32 exec_lo, exec_lo, s15
	s_cbranch_execz .LBB16_12
.LBB16_7:                               ; =>This Loop Header: Depth=1
                                        ;     Child Loop BB16_10 Depth 2
	v_lshlrev_b64 v[9:10], 3, v[7:8]
	s_and_not1_b32 s17, s17, exec_lo
	s_or_b32 s18, s18, exec_lo
	s_mov_b32 s19, exec_lo
	s_waitcnt lgkmcnt(0)
	s_delay_alu instid0(VALU_DEP_1)
	v_add_co_u32 v9, vcc_lo, s0, v9
	v_add_co_ci_u32_e32 v10, vcc_lo, s1, v10, vcc_lo
	global_load_b64 v[9:10], v[9:10], off slc dlc
	s_waitcnt vmcnt(0)
	v_sub_co_u32 v9, vcc_lo, v9, s2
	v_subrev_co_ci_u32_e32 v10, vcc_lo, 0, v10, vcc_lo
	s_delay_alu instid0(VALU_DEP_1)
	v_cmpx_lt_i64_e64 s[12:13], v[9:10]
	s_cbranch_execz .LBB16_6
; %bb.8:                                ;   in Loop: Header=BB16_7 Depth=1
	v_lshlrev_b64 v[11:12], 2, v[9:10]
	s_mov_b32 s20, exec_lo
	s_delay_alu instid0(VALU_DEP_1) | instskip(NEXT) | instid1(VALU_DEP_2)
	v_add_co_u32 v11, vcc_lo, s10, v11
	v_add_co_ci_u32_e32 v12, vcc_lo, s11, v12, vcc_lo
	global_load_b32 v17, v[11:12], off glc
	s_waitcnt vmcnt(0)
	v_cmpx_eq_u32_e32 0, v17
	s_cbranch_execz .LBB16_5
; %bb.9:                                ;   in Loop: Header=BB16_7 Depth=1
	s_mov_b32 s21, 0
.LBB16_10:                              ;   Parent Loop BB16_7 Depth=1
                                        ; =>  This Inner Loop Header: Depth=2
	global_load_b32 v17, v[11:12], off glc
	s_waitcnt vmcnt(0)
	v_cmp_ne_u32_e32 vcc_lo, 0, v17
	s_or_b32 s21, vcc_lo, s21
	s_delay_alu instid0(SALU_CYCLE_1)
	s_and_not1_b32 exec_lo, exec_lo, s21
	s_cbranch_execnz .LBB16_10
; %bb.11:                               ;   in Loop: Header=BB16_7 Depth=1
	s_or_b32 exec_lo, exec_lo, s21
	s_branch .LBB16_5
.LBB16_12:
	s_or_b32 exec_lo, exec_lo, s15
	s_delay_alu instid0(SALU_CYCLE_1)
	s_or_not1_b32 s16, s16, exec_lo
.LBB16_13:
	s_or_b32 exec_lo, exec_lo, s14
	s_xor_b32 s1, s16, -1
	s_delay_alu instid0(SALU_CYCLE_1)
	s_and_saveexec_b32 s0, s1
	s_cbranch_execz .LBB16_22
; %bb.14:
	s_mov_b32 s1, exec_lo
	v_cmpx_eq_u64_e64 v[9:10], v[1:2]
	s_cbranch_execz .LBB16_16
; %bb.15:
	v_add_co_u32 v11, vcc_lo, s8, v3
	v_add_co_ci_u32_e32 v12, vcc_lo, s9, v4, vcc_lo
	global_store_b64 v[11:12], v[7:8], off
.LBB16_16:
	s_or_b32 exec_lo, exec_lo, s1
	s_delay_alu instid0(SALU_CYCLE_1)
	s_mov_b32 s1, exec_lo
	v_cmpx_gt_i64_e64 v[9:10], v[1:2]
	s_cbranch_execz .LBB16_21
; %bb.17:
	v_sub_nc_u32_e32 v7, s12, v9
	s_mov_b32 s13, 0
	s_mov_b32 s12, exec_lo
	s_delay_alu instid0(VALU_DEP_1)
	v_lshlrev_b32_e32 v8, 2, v7
	ds_load_b32 v7, v8
	s_waitcnt lgkmcnt(0)
	v_cmpx_eq_u32_e32 0, v7
	s_cbranch_execz .LBB16_20
.LBB16_18:                              ; =>This Inner Loop Header: Depth=1
	ds_load_b32 v7, v8
	s_waitcnt lgkmcnt(0)
	v_cmp_ne_u32_e32 vcc_lo, 0, v7
	s_or_b32 s13, vcc_lo, s13
	s_delay_alu instid0(SALU_CYCLE_1)
	s_and_not1_b32 exec_lo, exec_lo, s13
	s_cbranch_execnz .LBB16_18
; %bb.19:
	s_or_b32 exec_lo, exec_lo, s13
.LBB16_20:
	s_delay_alu instid0(SALU_CYCLE_1)
	s_or_b32 exec_lo, exec_lo, s12
	v_max_i32_e32 v16, v7, v16
.LBB16_21:
	s_or_b32 exec_lo, exec_lo, s1
.LBB16_22:
	s_delay_alu instid0(SALU_CYCLE_1)
	s_or_b32 exec_lo, exec_lo, s0
	v_mbcnt_lo_u32_b32 v7, -1, 0
	s_waitcnt_vscnt null, 0x0
	buffer_gl0_inv
	v_or_b32_e32 v8, 32, v7
	v_xor_b32_e32 v9, 16, v7
	v_xor_b32_e32 v10, 8, v7
	s_delay_alu instid0(VALU_DEP_3) | instskip(SKIP_1) | instid1(VALU_DEP_4)
	v_cmp_gt_i32_e32 vcc_lo, 32, v8
	v_cndmask_b32_e32 v8, v7, v8, vcc_lo
	v_cmp_gt_i32_e32 vcc_lo, 32, v9
	v_cndmask_b32_e32 v9, v7, v9, vcc_lo
	;; [unrolled: 2-line block ×3, first 2 shown]
	s_delay_alu instid0(VALU_DEP_1) | instskip(NEXT) | instid1(VALU_DEP_4)
	v_lshlrev_b32_e32 v10, 2, v10
	v_lshlrev_b32_e32 v9, 2, v9
	;; [unrolled: 1-line block ×3, first 2 shown]
	ds_bpermute_b32 v8, v8, v16
	s_waitcnt lgkmcnt(0)
	v_max_i32_e32 v8, v16, v8
	ds_bpermute_b32 v9, v9, v8
	s_waitcnt lgkmcnt(0)
	v_max_i32_e32 v8, v8, v9
	ds_bpermute_b32 v9, v10, v8
	v_xor_b32_e32 v10, 4, v7
	s_delay_alu instid0(VALU_DEP_1) | instskip(SKIP_1) | instid1(VALU_DEP_1)
	v_cmp_gt_i32_e32 vcc_lo, 32, v10
	v_cndmask_b32_e32 v10, v7, v10, vcc_lo
	v_lshlrev_b32_e32 v10, 2, v10
	s_waitcnt lgkmcnt(0)
	v_max_i32_e32 v8, v8, v9
	ds_bpermute_b32 v9, v10, v8
	v_xor_b32_e32 v10, 2, v7
	s_delay_alu instid0(VALU_DEP_1) | instskip(SKIP_1) | instid1(VALU_DEP_1)
	v_cmp_gt_i32_e32 vcc_lo, 32, v10
	v_cndmask_b32_e32 v10, v7, v10, vcc_lo
	v_lshlrev_b32_e32 v10, 2, v10
	s_waitcnt lgkmcnt(0)
	v_max_i32_e32 v8, v8, v9
	ds_bpermute_b32 v9, v10, v8
	v_xor_b32_e32 v10, 1, v7
	s_delay_alu instid0(VALU_DEP_1) | instskip(SKIP_4) | instid1(VALU_DEP_3)
	v_cmp_gt_i32_e32 vcc_lo, 32, v10
	v_cndmask_b32_e32 v10, v7, v10, vcc_lo
	v_cmp_eq_u32_e32 vcc_lo, 63, v0
	s_waitcnt lgkmcnt(0)
	v_max_i32_e32 v7, v8, v9
	v_lshlrev_b32_e32 v8, 2, v10
	ds_bpermute_b32 v8, v8, v7
	s_and_b32 exec_lo, exec_lo, vcc_lo
	s_cbranch_execz .LBB16_32
; %bb.23:
	s_waitcnt lgkmcnt(0)
	v_max_i32_e32 v0, v7, v8
	v_lshlrev_b64 v[7:8], 2, v[1:2]
	s_mov_b32 s12, exec_lo
	s_mov_b64 s[0:1], 0
	s_delay_alu instid0(VALU_DEP_2) | instskip(NEXT) | instid1(VALU_DEP_2)
	v_add_nc_u32_e32 v9, 1, v0
	v_add_co_u32 v7, vcc_lo, s10, v7
	s_delay_alu instid0(VALU_DEP_3)
	v_add_co_ci_u32_e32 v8, vcc_lo, s11, v8, vcc_lo
	v_sub_co_u32 v0, vcc_lo, v14, v5
	v_sub_co_ci_u32_e32 v5, vcc_lo, v15, v6, vcc_lo
	ds_store_b32 v13, v9
	global_store_b32 v[7:8], v9, off
.LBB16_24:                              ; =>This Inner Loop Header: Depth=1
	s_ctz_i32_b32 s13, s12
	s_delay_alu instid0(SALU_CYCLE_1) | instskip(SKIP_1) | instid1(VALU_DEP_1)
	v_readlane_b32 s11, v5, s13
	v_readlane_b32 s10, v0, s13
	v_cmp_gt_u64_e64 s14, s[0:1], s[10:11]
	s_delay_alu instid0(VALU_DEP_1) | instskip(SKIP_3) | instid1(SALU_CYCLE_1)
	s_and_b32 s14, s14, exec_lo
	s_cselect_b32 s1, s1, s11
	s_cselect_b32 s0, s0, s10
	s_lshl_b32 s10, 1, s13
	s_and_not1_b32 s12, s12, s10
	s_delay_alu instid0(SALU_CYCLE_1)
	s_cmp_lg_u32 s12, 0
	s_cbranch_scc1 .LBB16_24
; %bb.25:
	v_mbcnt_lo_u32_b32 v0, exec_lo, 0
	s_mov_b32 s10, exec_lo
	s_delay_alu instid0(VALU_DEP_1)
	v_cmpx_eq_u32_e32 0, v0
	s_xor_b32 s10, exec_lo, s10
	s_cbranch_execz .LBB16_27
; %bb.26:
	v_mov_b32_e32 v6, s1
	v_dual_mov_b32 v0, 0 :: v_dual_mov_b32 v5, s0
	global_atomic_max_u64 v0, v[5:6], s[4:5]
.LBB16_27:
	s_or_b32 exec_lo, exec_lo, s10
	v_add_co_u32 v3, vcc_lo, s8, v3
	v_add_co_ci_u32_e32 v4, vcc_lo, s9, v4, vcc_lo
	s_cmp_eq_u32 s3, 0
	s_mov_b64 s[0:1], -1
	s_cselect_b32 s3, -1, 0
	global_load_b64 v[3:4], v[3:4], off
	s_waitcnt vmcnt(0)
	v_cmp_eq_u64_e32 vcc_lo, -1, v[3:4]
	s_and_b32 s3, s3, vcc_lo
	s_delay_alu instid0(SALU_CYCLE_1)
	s_and_b32 exec_lo, exec_lo, s3
	s_cbranch_execz .LBB16_32
; %bb.28:
	v_add_co_u32 v0, vcc_lo, v1, s2
	v_add_co_ci_u32_e32 v1, vcc_lo, 0, v2, vcc_lo
	s_mov_b32 s3, exec_lo
.LBB16_29:                              ; =>This Inner Loop Header: Depth=1
	s_delay_alu instid0(SALU_CYCLE_1)
	s_ctz_i32_b32 s2, s3
	s_delay_alu instid0(VALU_DEP_1) | instid1(SALU_CYCLE_1)
	v_readlane_b32 s5, v1, s2
	v_readlane_b32 s4, v0, s2
	s_delay_alu instid0(VALU_DEP_1) | instskip(NEXT) | instid1(VALU_DEP_1)
	v_cmp_lt_u64_e64 s8, s[0:1], s[4:5]
	s_and_b32 s8, s8, exec_lo
	s_cselect_b32 s1, s1, s5
	s_cselect_b32 s0, s0, s4
	s_lshl_b32 s2, 1, s2
	s_delay_alu instid0(SALU_CYCLE_1) | instskip(NEXT) | instid1(SALU_CYCLE_1)
	s_and_not1_b32 s3, s3, s2
	s_cmp_lg_u32 s3, 0
	s_cbranch_scc1 .LBB16_29
; %bb.30:
	v_mbcnt_lo_u32_b32 v0, exec_lo, 0
	s_mov_b32 s2, exec_lo
	s_delay_alu instid0(VALU_DEP_1)
	v_cmpx_eq_u32_e32 0, v0
	s_xor_b32 s2, exec_lo, s2
	s_cbranch_execz .LBB16_32
; %bb.31:
	v_mov_b32_e32 v0, s0
	v_dual_mov_b32 v2, 0 :: v_dual_mov_b32 v1, s1
	global_atomic_min_u64 v2, v[0:1], s[6:7]
.LBB16_32:
	s_nop 0
	s_sendmsg sendmsg(MSG_DEALLOC_VGPRS)
	s_endpgm
	.section	.rodata,"a",@progbits
	.p2align	6, 0x0
	.amdhsa_kernel _ZN9rocsparseL27csrsv_analysis_upper_kernelILj1024ELj64ELb0EllEEvT3_PKT2_PKS1_PS2_PiS7_PS1_21rocsparse_index_base_20rocsparse_diag_type_
		.amdhsa_group_segment_fixed_size 64
		.amdhsa_private_segment_fixed_size 0
		.amdhsa_kernarg_size 64
		.amdhsa_user_sgpr_count 15
		.amdhsa_user_sgpr_dispatch_ptr 0
		.amdhsa_user_sgpr_queue_ptr 0
		.amdhsa_user_sgpr_kernarg_segment_ptr 1
		.amdhsa_user_sgpr_dispatch_id 0
		.amdhsa_user_sgpr_private_segment_size 0
		.amdhsa_wavefront_size32 1
		.amdhsa_uses_dynamic_stack 0
		.amdhsa_enable_private_segment 0
		.amdhsa_system_sgpr_workgroup_id_x 1
		.amdhsa_system_sgpr_workgroup_id_y 0
		.amdhsa_system_sgpr_workgroup_id_z 0
		.amdhsa_system_sgpr_workgroup_info 0
		.amdhsa_system_vgpr_workitem_id 0
		.amdhsa_next_free_vgpr 18
		.amdhsa_next_free_sgpr 22
		.amdhsa_reserve_vcc 1
		.amdhsa_float_round_mode_32 0
		.amdhsa_float_round_mode_16_64 0
		.amdhsa_float_denorm_mode_32 3
		.amdhsa_float_denorm_mode_16_64 3
		.amdhsa_dx10_clamp 1
		.amdhsa_ieee_mode 1
		.amdhsa_fp16_overflow 0
		.amdhsa_workgroup_processor_mode 1
		.amdhsa_memory_ordered 1
		.amdhsa_forward_progress 0
		.amdhsa_shared_vgpr_count 0
		.amdhsa_exception_fp_ieee_invalid_op 0
		.amdhsa_exception_fp_denorm_src 0
		.amdhsa_exception_fp_ieee_div_zero 0
		.amdhsa_exception_fp_ieee_overflow 0
		.amdhsa_exception_fp_ieee_underflow 0
		.amdhsa_exception_fp_ieee_inexact 0
		.amdhsa_exception_int_div_zero 0
	.end_amdhsa_kernel
	.section	.text._ZN9rocsparseL27csrsv_analysis_upper_kernelILj1024ELj64ELb0EllEEvT3_PKT2_PKS1_PS2_PiS7_PS1_21rocsparse_index_base_20rocsparse_diag_type_,"axG",@progbits,_ZN9rocsparseL27csrsv_analysis_upper_kernelILj1024ELj64ELb0EllEEvT3_PKT2_PKS1_PS2_PiS7_PS1_21rocsparse_index_base_20rocsparse_diag_type_,comdat
.Lfunc_end16:
	.size	_ZN9rocsparseL27csrsv_analysis_upper_kernelILj1024ELj64ELb0EllEEvT3_PKT2_PKS1_PS2_PiS7_PS1_21rocsparse_index_base_20rocsparse_diag_type_, .Lfunc_end16-_ZN9rocsparseL27csrsv_analysis_upper_kernelILj1024ELj64ELb0EllEEvT3_PKT2_PKS1_PS2_PiS7_PS1_21rocsparse_index_base_20rocsparse_diag_type_
                                        ; -- End function
	.section	.AMDGPU.csdata,"",@progbits
; Kernel info:
; codeLenInByte = 1428
; NumSgprs: 24
; NumVgprs: 18
; ScratchSize: 0
; MemoryBound: 0
; FloatMode: 240
; IeeeMode: 1
; LDSByteSize: 64 bytes/workgroup (compile time only)
; SGPRBlocks: 2
; VGPRBlocks: 2
; NumSGPRsForWavesPerEU: 24
; NumVGPRsForWavesPerEU: 18
; Occupancy: 16
; WaveLimiterHint : 1
; COMPUTE_PGM_RSRC2:SCRATCH_EN: 0
; COMPUTE_PGM_RSRC2:USER_SGPR: 15
; COMPUTE_PGM_RSRC2:TRAP_HANDLER: 0
; COMPUTE_PGM_RSRC2:TGID_X_EN: 1
; COMPUTE_PGM_RSRC2:TGID_Y_EN: 0
; COMPUTE_PGM_RSRC2:TGID_Z_EN: 0
; COMPUTE_PGM_RSRC2:TIDIG_COMP_CNT: 0
	.section	.text._ZN9rocsparseL27csrsv_analysis_lower_kernelILj1024ELj64ELb0EllEEvT3_PKT2_PKS1_PS2_PiS7_PS1_21rocsparse_index_base_20rocsparse_diag_type_,"axG",@progbits,_ZN9rocsparseL27csrsv_analysis_lower_kernelILj1024ELj64ELb0EllEEvT3_PKT2_PKS1_PS2_PiS7_PS1_21rocsparse_index_base_20rocsparse_diag_type_,comdat
	.globl	_ZN9rocsparseL27csrsv_analysis_lower_kernelILj1024ELj64ELb0EllEEvT3_PKT2_PKS1_PS2_PiS7_PS1_21rocsparse_index_base_20rocsparse_diag_type_ ; -- Begin function _ZN9rocsparseL27csrsv_analysis_lower_kernelILj1024ELj64ELb0EllEEvT3_PKT2_PKS1_PS2_PiS7_PS1_21rocsparse_index_base_20rocsparse_diag_type_
	.p2align	8
	.type	_ZN9rocsparseL27csrsv_analysis_lower_kernelILj1024ELj64ELb0EllEEvT3_PKT2_PKS1_PS2_PiS7_PS1_21rocsparse_index_base_20rocsparse_diag_type_,@function
_ZN9rocsparseL27csrsv_analysis_lower_kernelILj1024ELj64ELb0EllEEvT3_PKT2_PKS1_PS2_PiS7_PS1_21rocsparse_index_base_20rocsparse_diag_type_: ; @_ZN9rocsparseL27csrsv_analysis_lower_kernelILj1024ELj64ELb0EllEEvT3_PKT2_PKS1_PS2_PiS7_PS1_21rocsparse_index_base_20rocsparse_diag_type_
; %bb.0:
	s_load_b64 s[2:3], s[0:1], 0x0
	v_lshrrev_b32_e32 v3, 6, v0
	s_lshl_b32 s12, s15, 4
	s_delay_alu instid0(VALU_DEP_1)
	v_dual_mov_b32 v2, 0 :: v_dual_lshlrev_b32 v13, 2, v3
	v_or_b32_e32 v1, s12, v3
	ds_store_b32 v13, v2
	s_waitcnt lgkmcnt(0)
	s_barrier
	buffer_gl0_inv
	v_cmp_gt_i64_e32 vcc_lo, s[2:3], v[1:2]
	s_and_saveexec_b32 s2, vcc_lo
	s_cbranch_execz .LBB17_32
; %bb.1:
	s_clause 0x1
	s_load_b64 s[2:3], s[0:1], 0x8
	s_load_b128 s[8:11], s[0:1], 0x18
	v_lshlrev_b64 v[3:4], 3, v[1:2]
	v_and_b32_e32 v0, 63, v0
	s_mov_b32 s13, 0
	s_mov_b32 s4, exec_lo
	s_delay_alu instid0(VALU_DEP_1)
	v_cmpx_eq_u32_e32 0, v0
	s_cbranch_execz .LBB17_3
; %bb.2:
	v_mov_b32_e32 v5, -1
	s_waitcnt lgkmcnt(0)
	v_add_co_u32 v7, vcc_lo, s8, v3
	v_add_co_ci_u32_e32 v8, vcc_lo, s9, v4, vcc_lo
	s_delay_alu instid0(VALU_DEP_3)
	v_mov_b32_e32 v6, v5
	global_store_b64 v[7:8], v[5:6], off
.LBB17_3:
	s_or_b32 exec_lo, exec_lo, s4
	s_waitcnt lgkmcnt(0)
	v_add_co_u32 v5, vcc_lo, s2, v3
	v_add_co_ci_u32_e32 v6, vcc_lo, s3, v4, vcc_lo
	v_dual_mov_b32 v9, -1 :: v_dual_mov_b32 v16, 0
	v_mov_b32_e32 v10, -1
	global_load_b128 v[5:8], v[5:6], off
	s_clause 0x1
	s_load_b64 s[2:3], s[0:1], 0x38
	s_load_b128 s[4:7], s[0:1], 0x28
	s_mov_b32 s14, exec_lo
	s_waitcnt vmcnt(0) lgkmcnt(0)
	v_sub_co_u32 v14, vcc_lo, v5, s2
	v_subrev_co_ci_u32_e32 v15, vcc_lo, 0, v6, vcc_lo
	v_sub_co_u32 v5, vcc_lo, v7, s2
	v_subrev_co_ci_u32_e32 v6, vcc_lo, 0, v8, vcc_lo
	s_delay_alu instid0(VALU_DEP_4) | instskip(NEXT) | instid1(VALU_DEP_4)
	v_add_co_u32 v7, vcc_lo, v14, v0
	v_add_co_ci_u32_e32 v8, vcc_lo, 0, v15, vcc_lo
	s_delay_alu instid0(VALU_DEP_1)
	v_cmpx_lt_i64_e64 v[7:8], v[5:6]
	s_cbranch_execz .LBB17_13
; %bb.4:
	s_load_b64 s[0:1], s[0:1], 0x10
	v_mov_b32_e32 v16, 0
	s_mov_b32 s15, 0
                                        ; implicit-def: $sgpr16
                                        ; implicit-def: $sgpr18
                                        ; implicit-def: $sgpr17
	s_branch .LBB17_7
.LBB17_5:                               ;   in Loop: Header=BB17_7 Depth=1
	s_or_b32 exec_lo, exec_lo, s20
	v_add_co_u32 v7, vcc_lo, v7, 64
	v_add_co_ci_u32_e32 v8, vcc_lo, 0, v8, vcc_lo
	v_max_i32_e32 v16, v17, v16
	s_and_not1_b32 s18, s18, exec_lo
	s_and_not1_b32 s17, s17, exec_lo
	s_delay_alu instid0(VALU_DEP_2) | instskip(SKIP_1) | instid1(SALU_CYCLE_1)
	v_cmp_ge_i64_e32 vcc_lo, v[7:8], v[5:6]
	s_and_b32 s20, vcc_lo, exec_lo
	s_or_b32 s18, s18, s20
.LBB17_6:                               ;   in Loop: Header=BB17_7 Depth=1
	s_or_b32 exec_lo, exec_lo, s19
	s_delay_alu instid0(SALU_CYCLE_1) | instskip(NEXT) | instid1(SALU_CYCLE_1)
	s_and_b32 s19, exec_lo, s18
	s_or_b32 s15, s19, s15
	s_and_not1_b32 s16, s16, exec_lo
	s_and_b32 s19, s17, exec_lo
	s_delay_alu instid0(SALU_CYCLE_1)
	s_or_b32 s16, s16, s19
	s_and_not1_b32 exec_lo, exec_lo, s15
	s_cbranch_execz .LBB17_12
.LBB17_7:                               ; =>This Loop Header: Depth=1
                                        ;     Child Loop BB17_10 Depth 2
	v_lshlrev_b64 v[9:10], 3, v[7:8]
	s_or_b32 s17, s17, exec_lo
	s_or_b32 s18, s18, exec_lo
	s_mov_b32 s19, exec_lo
	s_waitcnt lgkmcnt(0)
	s_delay_alu instid0(VALU_DEP_1)
	v_add_co_u32 v9, vcc_lo, s0, v9
	v_add_co_ci_u32_e32 v10, vcc_lo, s1, v10, vcc_lo
	global_load_b64 v[9:10], v[9:10], off slc dlc
	s_waitcnt vmcnt(0)
	v_sub_co_u32 v9, vcc_lo, v9, s2
	v_subrev_co_ci_u32_e32 v10, vcc_lo, 0, v10, vcc_lo
	s_delay_alu instid0(VALU_DEP_1)
	v_cmpx_gt_i64_e64 s[12:13], v[9:10]
	s_cbranch_execz .LBB17_6
; %bb.8:                                ;   in Loop: Header=BB17_7 Depth=1
	v_lshlrev_b64 v[11:12], 2, v[9:10]
	s_mov_b32 s20, exec_lo
	s_delay_alu instid0(VALU_DEP_1) | instskip(NEXT) | instid1(VALU_DEP_2)
	v_add_co_u32 v11, vcc_lo, s10, v11
	v_add_co_ci_u32_e32 v12, vcc_lo, s11, v12, vcc_lo
	global_load_b32 v17, v[11:12], off glc
	s_waitcnt vmcnt(0)
	v_cmpx_eq_u32_e32 0, v17
	s_cbranch_execz .LBB17_5
; %bb.9:                                ;   in Loop: Header=BB17_7 Depth=1
	s_mov_b32 s21, 0
.LBB17_10:                              ;   Parent Loop BB17_7 Depth=1
                                        ; =>  This Inner Loop Header: Depth=2
	global_load_b32 v17, v[11:12], off glc
	s_waitcnt vmcnt(0)
	v_cmp_ne_u32_e32 vcc_lo, 0, v17
	s_or_b32 s21, vcc_lo, s21
	s_delay_alu instid0(SALU_CYCLE_1)
	s_and_not1_b32 exec_lo, exec_lo, s21
	s_cbranch_execnz .LBB17_10
; %bb.11:                               ;   in Loop: Header=BB17_7 Depth=1
	s_or_b32 exec_lo, exec_lo, s21
	s_branch .LBB17_5
.LBB17_12:
	s_or_b32 exec_lo, exec_lo, s15
	s_delay_alu instid0(SALU_CYCLE_1)
	s_and_b32 s13, s16, exec_lo
.LBB17_13:
	s_or_b32 exec_lo, exec_lo, s14
	s_and_saveexec_b32 s0, s13
	s_cbranch_execz .LBB17_22
; %bb.14:
	s_mov_b32 s1, exec_lo
	v_cmpx_eq_u64_e64 v[9:10], v[1:2]
	s_cbranch_execz .LBB17_16
; %bb.15:
	v_add_co_u32 v11, vcc_lo, s8, v3
	v_add_co_ci_u32_e32 v12, vcc_lo, s9, v4, vcc_lo
	global_store_b64 v[11:12], v[7:8], off
.LBB17_16:
	s_or_b32 exec_lo, exec_lo, s1
	s_delay_alu instid0(SALU_CYCLE_1)
	s_mov_b32 s1, exec_lo
	v_cmpx_lt_i64_e64 v[9:10], v[1:2]
	s_cbranch_execz .LBB17_21
; %bb.17:
	v_subrev_nc_u32_e32 v7, s12, v9
	s_mov_b32 s13, 0
	s_mov_b32 s12, exec_lo
	s_delay_alu instid0(VALU_DEP_1)
	v_lshlrev_b32_e32 v8, 2, v7
	ds_load_b32 v7, v8
	s_waitcnt lgkmcnt(0)
	v_cmpx_eq_u32_e32 0, v7
	s_cbranch_execz .LBB17_20
.LBB17_18:                              ; =>This Inner Loop Header: Depth=1
	ds_load_b32 v7, v8
	s_waitcnt lgkmcnt(0)
	v_cmp_ne_u32_e32 vcc_lo, 0, v7
	s_or_b32 s13, vcc_lo, s13
	s_delay_alu instid0(SALU_CYCLE_1)
	s_and_not1_b32 exec_lo, exec_lo, s13
	s_cbranch_execnz .LBB17_18
; %bb.19:
	s_or_b32 exec_lo, exec_lo, s13
.LBB17_20:
	s_delay_alu instid0(SALU_CYCLE_1)
	s_or_b32 exec_lo, exec_lo, s12
	v_max_i32_e32 v16, v7, v16
.LBB17_21:
	s_or_b32 exec_lo, exec_lo, s1
.LBB17_22:
	s_delay_alu instid0(SALU_CYCLE_1)
	s_or_b32 exec_lo, exec_lo, s0
	v_mbcnt_lo_u32_b32 v7, -1, 0
	s_waitcnt_vscnt null, 0x0
	buffer_gl0_inv
	v_or_b32_e32 v8, 32, v7
	v_xor_b32_e32 v9, 16, v7
	v_xor_b32_e32 v10, 8, v7
	s_delay_alu instid0(VALU_DEP_3) | instskip(SKIP_1) | instid1(VALU_DEP_4)
	v_cmp_gt_i32_e32 vcc_lo, 32, v8
	v_cndmask_b32_e32 v8, v7, v8, vcc_lo
	v_cmp_gt_i32_e32 vcc_lo, 32, v9
	v_cndmask_b32_e32 v9, v7, v9, vcc_lo
	;; [unrolled: 2-line block ×3, first 2 shown]
	s_delay_alu instid0(VALU_DEP_1) | instskip(NEXT) | instid1(VALU_DEP_4)
	v_lshlrev_b32_e32 v10, 2, v10
	v_lshlrev_b32_e32 v9, 2, v9
	;; [unrolled: 1-line block ×3, first 2 shown]
	ds_bpermute_b32 v8, v8, v16
	s_waitcnt lgkmcnt(0)
	v_max_i32_e32 v8, v16, v8
	ds_bpermute_b32 v9, v9, v8
	s_waitcnt lgkmcnt(0)
	v_max_i32_e32 v8, v8, v9
	ds_bpermute_b32 v9, v10, v8
	v_xor_b32_e32 v10, 4, v7
	s_delay_alu instid0(VALU_DEP_1) | instskip(SKIP_1) | instid1(VALU_DEP_1)
	v_cmp_gt_i32_e32 vcc_lo, 32, v10
	v_cndmask_b32_e32 v10, v7, v10, vcc_lo
	v_lshlrev_b32_e32 v10, 2, v10
	s_waitcnt lgkmcnt(0)
	v_max_i32_e32 v8, v8, v9
	ds_bpermute_b32 v9, v10, v8
	v_xor_b32_e32 v10, 2, v7
	s_delay_alu instid0(VALU_DEP_1) | instskip(SKIP_1) | instid1(VALU_DEP_1)
	v_cmp_gt_i32_e32 vcc_lo, 32, v10
	v_cndmask_b32_e32 v10, v7, v10, vcc_lo
	v_lshlrev_b32_e32 v10, 2, v10
	s_waitcnt lgkmcnt(0)
	v_max_i32_e32 v8, v8, v9
	ds_bpermute_b32 v9, v10, v8
	v_xor_b32_e32 v10, 1, v7
	s_delay_alu instid0(VALU_DEP_1) | instskip(SKIP_4) | instid1(VALU_DEP_3)
	v_cmp_gt_i32_e32 vcc_lo, 32, v10
	v_cndmask_b32_e32 v10, v7, v10, vcc_lo
	v_cmp_eq_u32_e32 vcc_lo, 63, v0
	s_waitcnt lgkmcnt(0)
	v_max_i32_e32 v7, v8, v9
	v_lshlrev_b32_e32 v8, 2, v10
	ds_bpermute_b32 v8, v8, v7
	s_and_b32 exec_lo, exec_lo, vcc_lo
	s_cbranch_execz .LBB17_32
; %bb.23:
	s_waitcnt lgkmcnt(0)
	v_max_i32_e32 v0, v7, v8
	v_lshlrev_b64 v[7:8], 2, v[1:2]
	s_mov_b32 s12, exec_lo
	s_mov_b64 s[0:1], 0
	s_delay_alu instid0(VALU_DEP_2) | instskip(NEXT) | instid1(VALU_DEP_2)
	v_add_nc_u32_e32 v9, 1, v0
	v_add_co_u32 v7, vcc_lo, s10, v7
	s_delay_alu instid0(VALU_DEP_3)
	v_add_co_ci_u32_e32 v8, vcc_lo, s11, v8, vcc_lo
	v_sub_co_u32 v0, vcc_lo, v5, v14
	v_sub_co_ci_u32_e32 v2, vcc_lo, v6, v15, vcc_lo
	ds_store_b32 v13, v9
	global_store_b32 v[7:8], v9, off
.LBB17_24:                              ; =>This Inner Loop Header: Depth=1
	s_ctz_i32_b32 s13, s12
	s_delay_alu instid0(SALU_CYCLE_1) | instskip(SKIP_1) | instid1(VALU_DEP_1)
	v_readlane_b32 s11, v2, s13
	v_readlane_b32 s10, v0, s13
	v_cmp_gt_u64_e64 s14, s[0:1], s[10:11]
	s_delay_alu instid0(VALU_DEP_1) | instskip(SKIP_3) | instid1(SALU_CYCLE_1)
	s_and_b32 s14, s14, exec_lo
	s_cselect_b32 s1, s1, s11
	s_cselect_b32 s0, s0, s10
	s_lshl_b32 s10, 1, s13
	s_and_not1_b32 s12, s12, s10
	s_delay_alu instid0(SALU_CYCLE_1)
	s_cmp_lg_u32 s12, 0
	s_cbranch_scc1 .LBB17_24
; %bb.25:
	v_mbcnt_lo_u32_b32 v0, exec_lo, 0
	s_mov_b32 s10, exec_lo
	s_delay_alu instid0(VALU_DEP_1)
	v_cmpx_eq_u32_e32 0, v0
	s_xor_b32 s10, exec_lo, s10
	s_cbranch_execz .LBB17_27
; %bb.26:
	v_mov_b32_e32 v6, s1
	v_dual_mov_b32 v0, 0 :: v_dual_mov_b32 v5, s0
	global_atomic_max_u64 v0, v[5:6], s[4:5]
.LBB17_27:
	s_or_b32 exec_lo, exec_lo, s10
	v_add_co_u32 v2, vcc_lo, s8, v3
	v_add_co_ci_u32_e32 v3, vcc_lo, s9, v4, vcc_lo
	s_cmp_eq_u32 s3, 0
	s_mov_b64 s[0:1], -1
	s_cselect_b32 s3, -1, 0
	global_load_b64 v[2:3], v[2:3], off
	s_waitcnt vmcnt(0)
	v_cmp_eq_u64_e32 vcc_lo, -1, v[2:3]
	s_and_b32 s3, s3, vcc_lo
	s_delay_alu instid0(SALU_CYCLE_1)
	s_and_b32 exec_lo, exec_lo, s3
	s_cbranch_execz .LBB17_32
; %bb.28:
	v_add_co_u32 v0, s2, s2, v1
	s_delay_alu instid0(VALU_DEP_1)
	v_add_co_ci_u32_e64 v1, null, 0, 0, s2
	s_mov_b32 s3, exec_lo
.LBB17_29:                              ; =>This Inner Loop Header: Depth=1
	s_delay_alu instid0(SALU_CYCLE_1)
	s_ctz_i32_b32 s2, s3
	s_delay_alu instid0(VALU_DEP_1) | instid1(SALU_CYCLE_1)
	v_readlane_b32 s5, v1, s2
	v_readlane_b32 s4, v0, s2
	s_delay_alu instid0(VALU_DEP_1) | instskip(NEXT) | instid1(VALU_DEP_1)
	v_cmp_lt_u64_e64 s8, s[0:1], s[4:5]
	s_and_b32 s8, s8, exec_lo
	s_cselect_b32 s1, s1, s5
	s_cselect_b32 s0, s0, s4
	s_lshl_b32 s2, 1, s2
	s_delay_alu instid0(SALU_CYCLE_1) | instskip(NEXT) | instid1(SALU_CYCLE_1)
	s_and_not1_b32 s3, s3, s2
	s_cmp_lg_u32 s3, 0
	s_cbranch_scc1 .LBB17_29
; %bb.30:
	v_mbcnt_lo_u32_b32 v0, exec_lo, 0
	s_mov_b32 s2, exec_lo
	s_delay_alu instid0(VALU_DEP_1)
	v_cmpx_eq_u32_e32 0, v0
	s_xor_b32 s2, exec_lo, s2
	s_cbranch_execz .LBB17_32
; %bb.31:
	v_mov_b32_e32 v0, s0
	v_dual_mov_b32 v2, 0 :: v_dual_mov_b32 v1, s1
	global_atomic_min_u64 v2, v[0:1], s[6:7]
.LBB17_32:
	s_nop 0
	s_sendmsg sendmsg(MSG_DEALLOC_VGPRS)
	s_endpgm
	.section	.rodata,"a",@progbits
	.p2align	6, 0x0
	.amdhsa_kernel _ZN9rocsparseL27csrsv_analysis_lower_kernelILj1024ELj64ELb0EllEEvT3_PKT2_PKS1_PS2_PiS7_PS1_21rocsparse_index_base_20rocsparse_diag_type_
		.amdhsa_group_segment_fixed_size 64
		.amdhsa_private_segment_fixed_size 0
		.amdhsa_kernarg_size 64
		.amdhsa_user_sgpr_count 15
		.amdhsa_user_sgpr_dispatch_ptr 0
		.amdhsa_user_sgpr_queue_ptr 0
		.amdhsa_user_sgpr_kernarg_segment_ptr 1
		.amdhsa_user_sgpr_dispatch_id 0
		.amdhsa_user_sgpr_private_segment_size 0
		.amdhsa_wavefront_size32 1
		.amdhsa_uses_dynamic_stack 0
		.amdhsa_enable_private_segment 0
		.amdhsa_system_sgpr_workgroup_id_x 1
		.amdhsa_system_sgpr_workgroup_id_y 0
		.amdhsa_system_sgpr_workgroup_id_z 0
		.amdhsa_system_sgpr_workgroup_info 0
		.amdhsa_system_vgpr_workitem_id 0
		.amdhsa_next_free_vgpr 18
		.amdhsa_next_free_sgpr 22
		.amdhsa_reserve_vcc 1
		.amdhsa_float_round_mode_32 0
		.amdhsa_float_round_mode_16_64 0
		.amdhsa_float_denorm_mode_32 3
		.amdhsa_float_denorm_mode_16_64 3
		.amdhsa_dx10_clamp 1
		.amdhsa_ieee_mode 1
		.amdhsa_fp16_overflow 0
		.amdhsa_workgroup_processor_mode 1
		.amdhsa_memory_ordered 1
		.amdhsa_forward_progress 0
		.amdhsa_shared_vgpr_count 0
		.amdhsa_exception_fp_ieee_invalid_op 0
		.amdhsa_exception_fp_denorm_src 0
		.amdhsa_exception_fp_ieee_div_zero 0
		.amdhsa_exception_fp_ieee_overflow 0
		.amdhsa_exception_fp_ieee_underflow 0
		.amdhsa_exception_fp_ieee_inexact 0
		.amdhsa_exception_int_div_zero 0
	.end_amdhsa_kernel
	.section	.text._ZN9rocsparseL27csrsv_analysis_lower_kernelILj1024ELj64ELb0EllEEvT3_PKT2_PKS1_PS2_PiS7_PS1_21rocsparse_index_base_20rocsparse_diag_type_,"axG",@progbits,_ZN9rocsparseL27csrsv_analysis_lower_kernelILj1024ELj64ELb0EllEEvT3_PKT2_PKS1_PS2_PiS7_PS1_21rocsparse_index_base_20rocsparse_diag_type_,comdat
.Lfunc_end17:
	.size	_ZN9rocsparseL27csrsv_analysis_lower_kernelILj1024ELj64ELb0EllEEvT3_PKT2_PKS1_PS2_PiS7_PS1_21rocsparse_index_base_20rocsparse_diag_type_, .Lfunc_end17-_ZN9rocsparseL27csrsv_analysis_lower_kernelILj1024ELj64ELb0EllEEvT3_PKT2_PKS1_PS2_PiS7_PS1_21rocsparse_index_base_20rocsparse_diag_type_
                                        ; -- End function
	.section	.AMDGPU.csdata,"",@progbits
; Kernel info:
; codeLenInByte = 1384
; NumSgprs: 24
; NumVgprs: 18
; ScratchSize: 0
; MemoryBound: 0
; FloatMode: 240
; IeeeMode: 1
; LDSByteSize: 64 bytes/workgroup (compile time only)
; SGPRBlocks: 2
; VGPRBlocks: 2
; NumSGPRsForWavesPerEU: 24
; NumVGPRsForWavesPerEU: 18
; Occupancy: 16
; WaveLimiterHint : 1
; COMPUTE_PGM_RSRC2:SCRATCH_EN: 0
; COMPUTE_PGM_RSRC2:USER_SGPR: 15
; COMPUTE_PGM_RSRC2:TRAP_HANDLER: 0
; COMPUTE_PGM_RSRC2:TGID_X_EN: 1
; COMPUTE_PGM_RSRC2:TGID_Y_EN: 0
; COMPUTE_PGM_RSRC2:TGID_Z_EN: 0
; COMPUTE_PGM_RSRC2:TIDIG_COMP_CNT: 0
	.section	.text._ZN9rocsparseL27csrsv_analysis_upper_kernelILj1024ELj64ELb1EilEEvT3_PKT2_PKS1_PS2_PiS7_PS1_21rocsparse_index_base_20rocsparse_diag_type_,"axG",@progbits,_ZN9rocsparseL27csrsv_analysis_upper_kernelILj1024ELj64ELb1EilEEvT3_PKT2_PKS1_PS2_PiS7_PS1_21rocsparse_index_base_20rocsparse_diag_type_,comdat
	.globl	_ZN9rocsparseL27csrsv_analysis_upper_kernelILj1024ELj64ELb1EilEEvT3_PKT2_PKS1_PS2_PiS7_PS1_21rocsparse_index_base_20rocsparse_diag_type_ ; -- Begin function _ZN9rocsparseL27csrsv_analysis_upper_kernelILj1024ELj64ELb1EilEEvT3_PKT2_PKS1_PS2_PiS7_PS1_21rocsparse_index_base_20rocsparse_diag_type_
	.p2align	8
	.type	_ZN9rocsparseL27csrsv_analysis_upper_kernelILj1024ELj64ELb1EilEEvT3_PKT2_PKS1_PS2_PiS7_PS1_21rocsparse_index_base_20rocsparse_diag_type_,@function
_ZN9rocsparseL27csrsv_analysis_upper_kernelILj1024ELj64ELb1EilEEvT3_PKT2_PKS1_PS2_PiS7_PS1_21rocsparse_index_base_20rocsparse_diag_type_: ; @_ZN9rocsparseL27csrsv_analysis_upper_kernelILj1024ELj64ELb1EilEEvT3_PKT2_PKS1_PS2_PiS7_PS1_21rocsparse_index_base_20rocsparse_diag_type_
; %bb.0:
	s_load_b64 s[2:3], s[0:1], 0x0
	s_mov_b32 s5, 0
	s_lshl_b32 s4, s15, 4
	v_lshrrev_b32_e32 v3, 6, v0
	s_not_b64 s[4:5], s[4:5]
	s_delay_alu instid0(VALU_DEP_1)
	v_lshlrev_b32_e32 v10, 2, v3
	s_waitcnt lgkmcnt(0)
	s_add_u32 s12, s4, s2
	s_addc_u32 s13, s5, s3
	v_sub_co_u32 v1, s2, s12, v3
	v_mov_b32_e32 v3, 0
	v_sub_co_ci_u32_e64 v2, null, s13, 0, s2
	s_mov_b32 s2, exec_lo
	ds_store_b32 v10, v3
	s_waitcnt lgkmcnt(0)
	s_barrier
	buffer_gl0_inv
	v_cmpx_lt_i64_e32 -1, v[1:2]
	s_cbranch_execz .LBB18_37
; %bb.1:
	s_clause 0x1
	s_load_b64 s[2:3], s[0:1], 0x8
	s_load_b128 s[8:11], s[0:1], 0x18
	v_lshlrev_b64 v[3:4], 2, v[1:2]
	v_and_b32_e32 v0, 63, v0
	s_mov_b32 s4, exec_lo
	s_delay_alu instid0(VALU_DEP_1)
	v_cmpx_eq_u32_e32 0, v0
	s_cbranch_execz .LBB18_3
; %bb.2:
	s_waitcnt lgkmcnt(0)
	v_add_co_u32 v5, vcc_lo, s8, v3
	v_add_co_ci_u32_e32 v6, vcc_lo, s9, v4, vcc_lo
	v_mov_b32_e32 v7, -1
	global_store_b32 v[5:6], v7, off
.LBB18_3:
	s_or_b32 exec_lo, exec_lo, s4
	s_waitcnt lgkmcnt(0)
	v_add_co_u32 v5, vcc_lo, s2, v3
	v_add_co_ci_u32_e32 v6, vcc_lo, s3, v4, vcc_lo
	s_mov_b32 s15, -1
	s_mov_b32 s14, exec_lo
	v_mov_b32_e32 v13, 0
	global_load_b64 v[5:6], v[5:6], off
	s_clause 0x1
	s_load_b64 s[2:3], s[0:1], 0x38
	s_load_b128 s[4:7], s[0:1], 0x28
	s_waitcnt vmcnt(0) lgkmcnt(0)
	v_subrev_nc_u32_e32 v11, s2, v6
	v_mov_b32_e32 v6, -1
	v_subrev_nc_u32_e32 v12, s2, v5
	v_mov_b32_e32 v7, -1
	s_delay_alu instid0(VALU_DEP_4) | instskip(NEXT) | instid1(VALU_DEP_1)
	v_xad_u32 v5, v0, -1, v11
	v_cmpx_ge_i32_e64 v5, v12
	s_cbranch_execz .LBB18_15
; %bb.4:
	s_load_b64 s[0:1], s[0:1], 0x10
	v_mov_b32_e32 v13, 0
	s_mov_b32 s15, 0
                                        ; implicit-def: $sgpr16
                                        ; implicit-def: $sgpr18
                                        ; implicit-def: $sgpr17
	s_branch .LBB18_8
.LBB18_5:                               ;   in Loop: Header=BB18_8 Depth=1
	s_or_b32 exec_lo, exec_lo, s21
.LBB18_6:                               ;   in Loop: Header=BB18_8 Depth=1
	s_delay_alu instid0(SALU_CYCLE_1) | instskip(SKIP_4) | instid1(VALU_DEP_2)
	s_or_b32 exec_lo, exec_lo, s20
	v_subrev_nc_u32_e32 v5, 64, v5
	v_max_i32_e32 v13, v14, v13
	s_and_not1_b32 s18, s18, exec_lo
	s_or_b32 s17, s17, exec_lo
	v_cmp_lt_i32_e32 vcc_lo, v5, v12
	s_and_b32 s20, vcc_lo, exec_lo
	s_delay_alu instid0(SALU_CYCLE_1)
	s_or_b32 s18, s18, s20
.LBB18_7:                               ;   in Loop: Header=BB18_8 Depth=1
	s_or_b32 exec_lo, exec_lo, s19
	s_delay_alu instid0(SALU_CYCLE_1) | instskip(NEXT) | instid1(SALU_CYCLE_1)
	s_and_b32 s19, exec_lo, s18
	s_or_b32 s15, s19, s15
	s_and_not1_b32 s16, s16, exec_lo
	s_and_b32 s19, s17, exec_lo
	s_delay_alu instid0(SALU_CYCLE_1)
	s_or_b32 s16, s16, s19
	s_and_not1_b32 exec_lo, exec_lo, s15
	s_cbranch_execz .LBB18_14
.LBB18_8:                               ; =>This Loop Header: Depth=1
                                        ;     Child Loop BB18_12 Depth 2
                                        ;       Child Loop BB18_13 Depth 3
	v_ashrrev_i32_e32 v6, 31, v5
	s_and_not1_b32 s17, s17, exec_lo
	s_or_b32 s18, s18, exec_lo
	s_mov_b32 s19, exec_lo
	s_delay_alu instid0(VALU_DEP_1) | instskip(SKIP_1) | instid1(VALU_DEP_1)
	v_lshlrev_b64 v[6:7], 3, v[5:6]
	s_waitcnt lgkmcnt(0)
	v_add_co_u32 v6, vcc_lo, s0, v6
	s_delay_alu instid0(VALU_DEP_2) | instskip(SKIP_4) | instid1(VALU_DEP_1)
	v_add_co_ci_u32_e32 v7, vcc_lo, s1, v7, vcc_lo
	global_load_b64 v[6:7], v[6:7], off slc dlc
	s_waitcnt vmcnt(0)
	v_sub_co_u32 v6, vcc_lo, v6, s2
	v_subrev_co_ci_u32_e32 v7, vcc_lo, 0, v7, vcc_lo
	v_cmpx_lt_i64_e64 s[12:13], v[6:7]
	s_cbranch_execz .LBB18_7
; %bb.9:                                ;   in Loop: Header=BB18_8 Depth=1
	v_lshlrev_b64 v[8:9], 2, v[6:7]
	s_mov_b32 s20, exec_lo
	s_delay_alu instid0(VALU_DEP_1) | instskip(NEXT) | instid1(VALU_DEP_2)
	v_add_co_u32 v8, vcc_lo, s10, v8
	v_add_co_ci_u32_e32 v9, vcc_lo, s11, v9, vcc_lo
	global_load_b32 v14, v[8:9], off glc
	s_waitcnt vmcnt(0)
	v_cmpx_eq_u32_e32 0, v14
	s_cbranch_execz .LBB18_6
; %bb.10:                               ;   in Loop: Header=BB18_8 Depth=1
	s_mov_b32 s21, 0
	s_mov_b32 s22, 0
	s_branch .LBB18_12
	.p2align	6
.LBB18_11:                              ;   in Loop: Header=BB18_12 Depth=2
	global_load_b32 v14, v[8:9], off glc
	s_cmpk_lt_u32 s22, 0xf43
	s_cselect_b32 s23, -1, 0
	s_delay_alu instid0(SALU_CYCLE_1) | instskip(SKIP_4) | instid1(SALU_CYCLE_1)
	s_cmp_lg_u32 s23, 0
	s_addc_u32 s22, s22, 0
	s_waitcnt vmcnt(0)
	v_cmp_ne_u32_e32 vcc_lo, 0, v14
	s_or_b32 s21, vcc_lo, s21
	s_and_not1_b32 exec_lo, exec_lo, s21
	s_cbranch_execz .LBB18_5
.LBB18_12:                              ;   Parent Loop BB18_8 Depth=1
                                        ; =>  This Loop Header: Depth=2
                                        ;       Child Loop BB18_13 Depth 3
	s_cmp_eq_u32 s22, 0
	s_mov_b32 s23, s22
	s_cbranch_scc1 .LBB18_11
.LBB18_13:                              ;   Parent Loop BB18_8 Depth=1
                                        ;     Parent Loop BB18_12 Depth=2
                                        ; =>    This Inner Loop Header: Depth=3
	s_add_i32 s23, s23, -1
	s_sleep 1
	s_cmp_eq_u32 s23, 0
	s_cbranch_scc0 .LBB18_13
	s_branch .LBB18_11
.LBB18_14:
	s_or_b32 exec_lo, exec_lo, s15
	s_delay_alu instid0(SALU_CYCLE_1)
	s_or_not1_b32 s15, s16, exec_lo
.LBB18_15:
	s_or_b32 exec_lo, exec_lo, s14
	s_xor_b32 s1, s15, -1
	s_delay_alu instid0(SALU_CYCLE_1)
	s_and_saveexec_b32 s0, s1
	s_cbranch_execz .LBB18_27
; %bb.16:
	s_mov_b32 s1, exec_lo
	v_cmpx_eq_u64_e64 v[6:7], v[1:2]
	s_cbranch_execz .LBB18_18
; %bb.17:
	v_add_co_u32 v8, vcc_lo, s8, v3
	v_add_co_ci_u32_e32 v9, vcc_lo, s9, v4, vcc_lo
	global_store_b32 v[8:9], v5, off
.LBB18_18:
	s_or_b32 exec_lo, exec_lo, s1
	s_delay_alu instid0(SALU_CYCLE_1)
	s_mov_b32 s1, exec_lo
	v_cmpx_gt_i64_e64 v[6:7], v[1:2]
	s_cbranch_execz .LBB18_26
; %bb.19:
	v_sub_nc_u32_e32 v5, s12, v6
	s_mov_b32 s13, 0
	s_mov_b32 s12, exec_lo
	s_delay_alu instid0(VALU_DEP_1)
	v_lshlrev_b32_e32 v5, 2, v5
	ds_load_b32 v6, v5
	s_waitcnt lgkmcnt(0)
	v_cmpx_eq_u32_e32 0, v6
	s_cbranch_execz .LBB18_25
; %bb.20:
	s_mov_b32 s14, 0
	s_branch .LBB18_22
	.p2align	6
.LBB18_21:                              ;   in Loop: Header=BB18_22 Depth=1
	ds_load_b32 v6, v5
	s_cmpk_lt_u32 s14, 0xf43
	s_cselect_b32 s15, -1, 0
	s_delay_alu instid0(SALU_CYCLE_1) | instskip(SKIP_4) | instid1(SALU_CYCLE_1)
	s_cmp_lg_u32 s15, 0
	s_addc_u32 s14, s14, 0
	s_waitcnt lgkmcnt(0)
	v_cmp_ne_u32_e32 vcc_lo, 0, v6
	s_or_b32 s13, vcc_lo, s13
	s_and_not1_b32 exec_lo, exec_lo, s13
	s_cbranch_execz .LBB18_24
.LBB18_22:                              ; =>This Loop Header: Depth=1
                                        ;     Child Loop BB18_23 Depth 2
	s_cmp_eq_u32 s14, 0
	s_mov_b32 s15, s14
	s_cbranch_scc1 .LBB18_21
.LBB18_23:                              ;   Parent Loop BB18_22 Depth=1
                                        ; =>  This Inner Loop Header: Depth=2
	s_add_i32 s15, s15, -1
	s_sleep 1
	s_cmp_eq_u32 s15, 0
	s_cbranch_scc0 .LBB18_23
	s_branch .LBB18_21
.LBB18_24:
	s_or_b32 exec_lo, exec_lo, s13
.LBB18_25:
	s_delay_alu instid0(SALU_CYCLE_1)
	s_or_b32 exec_lo, exec_lo, s12
	v_max_i32_e32 v13, v6, v13
.LBB18_26:
	s_or_b32 exec_lo, exec_lo, s1
.LBB18_27:
	s_delay_alu instid0(SALU_CYCLE_1)
	s_or_b32 exec_lo, exec_lo, s0
	v_mbcnt_lo_u32_b32 v5, -1, 0
	s_waitcnt_vscnt null, 0x0
	buffer_gl0_inv
	v_or_b32_e32 v6, 32, v5
	v_xor_b32_e32 v7, 16, v5
	v_xor_b32_e32 v8, 8, v5
	s_delay_alu instid0(VALU_DEP_3) | instskip(SKIP_1) | instid1(VALU_DEP_4)
	v_cmp_gt_i32_e32 vcc_lo, 32, v6
	v_cndmask_b32_e32 v6, v5, v6, vcc_lo
	v_cmp_gt_i32_e32 vcc_lo, 32, v7
	v_cndmask_b32_e32 v7, v5, v7, vcc_lo
	v_cmp_gt_i32_e32 vcc_lo, 32, v8
	v_cndmask_b32_e32 v8, v5, v8, vcc_lo
	s_delay_alu instid0(VALU_DEP_1) | instskip(NEXT) | instid1(VALU_DEP_4)
	v_lshlrev_b32_e32 v8, 2, v8
	v_lshlrev_b32_e32 v7, 2, v7
	;; [unrolled: 1-line block ×3, first 2 shown]
	ds_bpermute_b32 v6, v6, v13
	s_waitcnt lgkmcnt(0)
	v_max_i32_e32 v6, v13, v6
	ds_bpermute_b32 v7, v7, v6
	s_waitcnt lgkmcnt(0)
	v_max_i32_e32 v6, v6, v7
	ds_bpermute_b32 v7, v8, v6
	v_xor_b32_e32 v8, 4, v5
	s_delay_alu instid0(VALU_DEP_1) | instskip(SKIP_1) | instid1(VALU_DEP_1)
	v_cmp_gt_i32_e32 vcc_lo, 32, v8
	v_cndmask_b32_e32 v8, v5, v8, vcc_lo
	v_lshlrev_b32_e32 v8, 2, v8
	s_waitcnt lgkmcnt(0)
	v_max_i32_e32 v6, v6, v7
	ds_bpermute_b32 v7, v8, v6
	v_xor_b32_e32 v8, 2, v5
	s_delay_alu instid0(VALU_DEP_1) | instskip(SKIP_1) | instid1(VALU_DEP_1)
	v_cmp_gt_i32_e32 vcc_lo, 32, v8
	v_cndmask_b32_e32 v8, v5, v8, vcc_lo
	v_lshlrev_b32_e32 v8, 2, v8
	s_waitcnt lgkmcnt(0)
	v_max_i32_e32 v6, v6, v7
	ds_bpermute_b32 v7, v8, v6
	v_xor_b32_e32 v8, 1, v5
	s_delay_alu instid0(VALU_DEP_1) | instskip(SKIP_4) | instid1(VALU_DEP_3)
	v_cmp_gt_i32_e32 vcc_lo, 32, v8
	v_cndmask_b32_e32 v8, v5, v8, vcc_lo
	v_cmp_eq_u32_e32 vcc_lo, 63, v0
	s_waitcnt lgkmcnt(0)
	v_max_i32_e32 v5, v6, v7
	v_lshlrev_b32_e32 v6, 2, v8
	ds_bpermute_b32 v6, v6, v5
	s_and_b32 exec_lo, exec_lo, vcc_lo
	s_cbranch_execz .LBB18_37
; %bb.28:
	s_waitcnt lgkmcnt(0)
	v_max_i32_e32 v0, v5, v6
	v_add_co_u32 v5, vcc_lo, s10, v3
	v_add_co_ci_u32_e32 v6, vcc_lo, s11, v4, vcc_lo
	s_delay_alu instid0(VALU_DEP_3)
	v_add_nc_u32_e32 v7, 1, v0
	v_sub_nc_u32_e32 v0, v11, v12
	s_mov_b32 s1, exec_lo
	s_brev_b32 s0, 1
	ds_store_b32 v10, v7
	global_store_b32 v[5:6], v7, off
.LBB18_29:                              ; =>This Inner Loop Header: Depth=1
	s_ctz_i32_b32 s10, s1
	s_delay_alu instid0(SALU_CYCLE_1) | instskip(SKIP_1) | instid1(SALU_CYCLE_1)
	v_readlane_b32 s11, v0, s10
	s_lshl_b32 s10, 1, s10
	s_and_not1_b32 s1, s1, s10
	s_delay_alu instid0(VALU_DEP_1)
	s_max_i32 s0, s0, s11
	s_cmp_lg_u32 s1, 0
	s_cbranch_scc1 .LBB18_29
; %bb.30:
	v_mbcnt_lo_u32_b32 v0, exec_lo, 0
	s_mov_b32 s1, exec_lo
	s_delay_alu instid0(VALU_DEP_1)
	v_cmpx_eq_u32_e32 0, v0
	s_xor_b32 s1, exec_lo, s1
	s_cbranch_execz .LBB18_32
; %bb.31:
	v_dual_mov_b32 v0, 0 :: v_dual_mov_b32 v5, s0
	global_atomic_max_i32 v0, v5, s[4:5]
.LBB18_32:
	s_or_b32 exec_lo, exec_lo, s1
	v_add_co_u32 v3, vcc_lo, s8, v3
	v_add_co_ci_u32_e32 v4, vcc_lo, s9, v4, vcc_lo
	s_cmp_eq_u32 s3, 0
	s_cselect_b32 s0, -1, 0
	global_load_b32 v0, v[3:4], off
	s_waitcnt vmcnt(0)
	v_cmp_eq_u32_e32 vcc_lo, -1, v0
	s_and_b32 s0, s0, vcc_lo
	s_delay_alu instid0(SALU_CYCLE_1)
	s_and_b32 exec_lo, exec_lo, s0
	s_cbranch_execz .LBB18_37
; %bb.33:
	v_add_co_u32 v0, vcc_lo, v1, s2
	v_add_co_ci_u32_e32 v1, vcc_lo, 0, v2, vcc_lo
	s_mov_b32 s3, exec_lo
	s_mov_b64 s[0:1], -1
.LBB18_34:                              ; =>This Inner Loop Header: Depth=1
	s_ctz_i32_b32 s2, s3
	s_delay_alu instid0(VALU_DEP_1) | instid1(SALU_CYCLE_1)
	v_readlane_b32 s5, v1, s2
	v_readlane_b32 s4, v0, s2
	s_delay_alu instid0(VALU_DEP_1) | instskip(NEXT) | instid1(VALU_DEP_1)
	v_cmp_lt_u64_e64 s8, s[0:1], s[4:5]
	s_and_b32 s8, s8, exec_lo
	s_cselect_b32 s1, s1, s5
	s_cselect_b32 s0, s0, s4
	s_lshl_b32 s2, 1, s2
	s_delay_alu instid0(SALU_CYCLE_1) | instskip(NEXT) | instid1(SALU_CYCLE_1)
	s_and_not1_b32 s3, s3, s2
	s_cmp_lg_u32 s3, 0
	s_cbranch_scc1 .LBB18_34
; %bb.35:
	v_mbcnt_lo_u32_b32 v0, exec_lo, 0
	s_mov_b32 s2, exec_lo
	s_delay_alu instid0(VALU_DEP_1)
	v_cmpx_eq_u32_e32 0, v0
	s_xor_b32 s2, exec_lo, s2
	s_cbranch_execz .LBB18_37
; %bb.36:
	v_mov_b32_e32 v0, s0
	v_dual_mov_b32 v2, 0 :: v_dual_mov_b32 v1, s1
	global_atomic_min_u64 v2, v[0:1], s[6:7]
.LBB18_37:
	s_nop 0
	s_sendmsg sendmsg(MSG_DEALLOC_VGPRS)
	s_endpgm
	.section	.rodata,"a",@progbits
	.p2align	6, 0x0
	.amdhsa_kernel _ZN9rocsparseL27csrsv_analysis_upper_kernelILj1024ELj64ELb1EilEEvT3_PKT2_PKS1_PS2_PiS7_PS1_21rocsparse_index_base_20rocsparse_diag_type_
		.amdhsa_group_segment_fixed_size 64
		.amdhsa_private_segment_fixed_size 0
		.amdhsa_kernarg_size 64
		.amdhsa_user_sgpr_count 15
		.amdhsa_user_sgpr_dispatch_ptr 0
		.amdhsa_user_sgpr_queue_ptr 0
		.amdhsa_user_sgpr_kernarg_segment_ptr 1
		.amdhsa_user_sgpr_dispatch_id 0
		.amdhsa_user_sgpr_private_segment_size 0
		.amdhsa_wavefront_size32 1
		.amdhsa_uses_dynamic_stack 0
		.amdhsa_enable_private_segment 0
		.amdhsa_system_sgpr_workgroup_id_x 1
		.amdhsa_system_sgpr_workgroup_id_y 0
		.amdhsa_system_sgpr_workgroup_id_z 0
		.amdhsa_system_sgpr_workgroup_info 0
		.amdhsa_system_vgpr_workitem_id 0
		.amdhsa_next_free_vgpr 15
		.amdhsa_next_free_sgpr 24
		.amdhsa_reserve_vcc 1
		.amdhsa_float_round_mode_32 0
		.amdhsa_float_round_mode_16_64 0
		.amdhsa_float_denorm_mode_32 3
		.amdhsa_float_denorm_mode_16_64 3
		.amdhsa_dx10_clamp 1
		.amdhsa_ieee_mode 1
		.amdhsa_fp16_overflow 0
		.amdhsa_workgroup_processor_mode 1
		.amdhsa_memory_ordered 1
		.amdhsa_forward_progress 0
		.amdhsa_shared_vgpr_count 0
		.amdhsa_exception_fp_ieee_invalid_op 0
		.amdhsa_exception_fp_denorm_src 0
		.amdhsa_exception_fp_ieee_div_zero 0
		.amdhsa_exception_fp_ieee_overflow 0
		.amdhsa_exception_fp_ieee_underflow 0
		.amdhsa_exception_fp_ieee_inexact 0
		.amdhsa_exception_int_div_zero 0
	.end_amdhsa_kernel
	.section	.text._ZN9rocsparseL27csrsv_analysis_upper_kernelILj1024ELj64ELb1EilEEvT3_PKT2_PKS1_PS2_PiS7_PS1_21rocsparse_index_base_20rocsparse_diag_type_,"axG",@progbits,_ZN9rocsparseL27csrsv_analysis_upper_kernelILj1024ELj64ELb1EilEEvT3_PKT2_PKS1_PS2_PiS7_PS1_21rocsparse_index_base_20rocsparse_diag_type_,comdat
.Lfunc_end18:
	.size	_ZN9rocsparseL27csrsv_analysis_upper_kernelILj1024ELj64ELb1EilEEvT3_PKT2_PKS1_PS2_PiS7_PS1_21rocsparse_index_base_20rocsparse_diag_type_, .Lfunc_end18-_ZN9rocsparseL27csrsv_analysis_upper_kernelILj1024ELj64ELb1EilEEvT3_PKT2_PKS1_PS2_PiS7_PS1_21rocsparse_index_base_20rocsparse_diag_type_
                                        ; -- End function
	.section	.AMDGPU.csdata,"",@progbits
; Kernel info:
; codeLenInByte = 1436
; NumSgprs: 26
; NumVgprs: 15
; ScratchSize: 0
; MemoryBound: 0
; FloatMode: 240
; IeeeMode: 1
; LDSByteSize: 64 bytes/workgroup (compile time only)
; SGPRBlocks: 3
; VGPRBlocks: 1
; NumSGPRsForWavesPerEU: 26
; NumVGPRsForWavesPerEU: 15
; Occupancy: 16
; WaveLimiterHint : 1
; COMPUTE_PGM_RSRC2:SCRATCH_EN: 0
; COMPUTE_PGM_RSRC2:USER_SGPR: 15
; COMPUTE_PGM_RSRC2:TRAP_HANDLER: 0
; COMPUTE_PGM_RSRC2:TGID_X_EN: 1
; COMPUTE_PGM_RSRC2:TGID_Y_EN: 0
; COMPUTE_PGM_RSRC2:TGID_Z_EN: 0
; COMPUTE_PGM_RSRC2:TIDIG_COMP_CNT: 0
	.section	.text._ZN9rocsparseL27csrsv_analysis_lower_kernelILj1024ELj64ELb1EilEEvT3_PKT2_PKS1_PS2_PiS7_PS1_21rocsparse_index_base_20rocsparse_diag_type_,"axG",@progbits,_ZN9rocsparseL27csrsv_analysis_lower_kernelILj1024ELj64ELb1EilEEvT3_PKT2_PKS1_PS2_PiS7_PS1_21rocsparse_index_base_20rocsparse_diag_type_,comdat
	.globl	_ZN9rocsparseL27csrsv_analysis_lower_kernelILj1024ELj64ELb1EilEEvT3_PKT2_PKS1_PS2_PiS7_PS1_21rocsparse_index_base_20rocsparse_diag_type_ ; -- Begin function _ZN9rocsparseL27csrsv_analysis_lower_kernelILj1024ELj64ELb1EilEEvT3_PKT2_PKS1_PS2_PiS7_PS1_21rocsparse_index_base_20rocsparse_diag_type_
	.p2align	8
	.type	_ZN9rocsparseL27csrsv_analysis_lower_kernelILj1024ELj64ELb1EilEEvT3_PKT2_PKS1_PS2_PiS7_PS1_21rocsparse_index_base_20rocsparse_diag_type_,@function
_ZN9rocsparseL27csrsv_analysis_lower_kernelILj1024ELj64ELb1EilEEvT3_PKT2_PKS1_PS2_PiS7_PS1_21rocsparse_index_base_20rocsparse_diag_type_: ; @_ZN9rocsparseL27csrsv_analysis_lower_kernelILj1024ELj64ELb1EilEEvT3_PKT2_PKS1_PS2_PiS7_PS1_21rocsparse_index_base_20rocsparse_diag_type_
; %bb.0:
	s_load_b64 s[2:3], s[0:1], 0x0
	v_lshrrev_b32_e32 v3, 6, v0
	s_lshl_b32 s12, s15, 4
	v_mov_b32_e32 v2, 0
	s_delay_alu instid0(VALU_DEP_2)
	v_or_b32_e32 v1, s12, v3
	v_lshlrev_b32_e32 v10, 2, v3
	ds_store_b32 v10, v2
	s_waitcnt lgkmcnt(0)
	s_barrier
	buffer_gl0_inv
	v_cmp_gt_i64_e32 vcc_lo, s[2:3], v[1:2]
	s_and_saveexec_b32 s2, vcc_lo
	s_cbranch_execz .LBB19_37
; %bb.1:
	s_clause 0x1
	s_load_b64 s[2:3], s[0:1], 0x8
	s_load_b128 s[8:11], s[0:1], 0x18
	v_lshlrev_b64 v[3:4], 2, v[1:2]
	v_and_b32_e32 v0, 63, v0
	s_mov_b32 s13, 0
	s_mov_b32 s4, exec_lo
	s_delay_alu instid0(VALU_DEP_1)
	v_cmpx_eq_u32_e32 0, v0
	s_cbranch_execz .LBB19_3
; %bb.2:
	s_waitcnt lgkmcnt(0)
	v_add_co_u32 v5, vcc_lo, s8, v3
	v_add_co_ci_u32_e32 v6, vcc_lo, s9, v4, vcc_lo
	v_mov_b32_e32 v7, -1
	global_store_b32 v[5:6], v7, off
.LBB19_3:
	s_or_b32 exec_lo, exec_lo, s4
	s_waitcnt lgkmcnt(0)
	v_add_co_u32 v5, vcc_lo, s2, v3
	v_add_co_ci_u32_e32 v6, vcc_lo, s3, v4, vcc_lo
	v_mov_b32_e32 v13, 0
	s_mov_b32 s14, exec_lo
	global_load_b64 v[5:6], v[5:6], off
	s_clause 0x1
	s_load_b64 s[2:3], s[0:1], 0x38
	s_load_b128 s[4:7], s[0:1], 0x28
	s_waitcnt vmcnt(0) lgkmcnt(0)
	v_subrev_nc_u32_e32 v11, s2, v5
	v_subrev_nc_u32_e32 v12, s2, v6
	v_mov_b32_e32 v6, -1
	v_mov_b32_e32 v7, -1
	s_delay_alu instid0(VALU_DEP_4) | instskip(NEXT) | instid1(VALU_DEP_1)
	v_add_nc_u32_e32 v5, v11, v0
	v_cmpx_lt_i32_e64 v5, v12
	s_cbranch_execz .LBB19_15
; %bb.4:
	s_load_b64 s[0:1], s[0:1], 0x10
	v_mov_b32_e32 v13, 0
	s_mov_b32 s15, 0
                                        ; implicit-def: $sgpr16
                                        ; implicit-def: $sgpr18
                                        ; implicit-def: $sgpr17
	s_branch .LBB19_8
.LBB19_5:                               ;   in Loop: Header=BB19_8 Depth=1
	s_or_b32 exec_lo, exec_lo, s21
.LBB19_6:                               ;   in Loop: Header=BB19_8 Depth=1
	s_delay_alu instid0(SALU_CYCLE_1) | instskip(SKIP_4) | instid1(VALU_DEP_2)
	s_or_b32 exec_lo, exec_lo, s20
	v_add_nc_u32_e32 v5, 64, v5
	v_max_i32_e32 v13, v14, v13
	s_and_not1_b32 s18, s18, exec_lo
	s_and_not1_b32 s17, s17, exec_lo
	v_cmp_ge_i32_e32 vcc_lo, v5, v12
	s_and_b32 s20, vcc_lo, exec_lo
	s_delay_alu instid0(SALU_CYCLE_1)
	s_or_b32 s18, s18, s20
.LBB19_7:                               ;   in Loop: Header=BB19_8 Depth=1
	s_or_b32 exec_lo, exec_lo, s19
	s_delay_alu instid0(SALU_CYCLE_1) | instskip(NEXT) | instid1(SALU_CYCLE_1)
	s_and_b32 s19, exec_lo, s18
	s_or_b32 s15, s19, s15
	s_and_not1_b32 s16, s16, exec_lo
	s_and_b32 s19, s17, exec_lo
	s_delay_alu instid0(SALU_CYCLE_1)
	s_or_b32 s16, s16, s19
	s_and_not1_b32 exec_lo, exec_lo, s15
	s_cbranch_execz .LBB19_14
.LBB19_8:                               ; =>This Loop Header: Depth=1
                                        ;     Child Loop BB19_12 Depth 2
                                        ;       Child Loop BB19_13 Depth 3
	v_ashrrev_i32_e32 v6, 31, v5
	s_or_b32 s17, s17, exec_lo
	s_or_b32 s18, s18, exec_lo
	s_mov_b32 s19, exec_lo
	s_delay_alu instid0(VALU_DEP_1) | instskip(SKIP_1) | instid1(VALU_DEP_1)
	v_lshlrev_b64 v[6:7], 3, v[5:6]
	s_waitcnt lgkmcnt(0)
	v_add_co_u32 v6, vcc_lo, s0, v6
	s_delay_alu instid0(VALU_DEP_2) | instskip(SKIP_4) | instid1(VALU_DEP_1)
	v_add_co_ci_u32_e32 v7, vcc_lo, s1, v7, vcc_lo
	global_load_b64 v[6:7], v[6:7], off slc dlc
	s_waitcnt vmcnt(0)
	v_sub_co_u32 v6, vcc_lo, v6, s2
	v_subrev_co_ci_u32_e32 v7, vcc_lo, 0, v7, vcc_lo
	v_cmpx_gt_i64_e64 s[12:13], v[6:7]
	s_cbranch_execz .LBB19_7
; %bb.9:                                ;   in Loop: Header=BB19_8 Depth=1
	v_lshlrev_b64 v[8:9], 2, v[6:7]
	s_mov_b32 s20, exec_lo
	s_delay_alu instid0(VALU_DEP_1) | instskip(NEXT) | instid1(VALU_DEP_2)
	v_add_co_u32 v8, vcc_lo, s10, v8
	v_add_co_ci_u32_e32 v9, vcc_lo, s11, v9, vcc_lo
	global_load_b32 v14, v[8:9], off glc
	s_waitcnt vmcnt(0)
	v_cmpx_eq_u32_e32 0, v14
	s_cbranch_execz .LBB19_6
; %bb.10:                               ;   in Loop: Header=BB19_8 Depth=1
	s_mov_b32 s21, 0
	s_mov_b32 s22, 0
	s_branch .LBB19_12
	.p2align	6
.LBB19_11:                              ;   in Loop: Header=BB19_12 Depth=2
	global_load_b32 v14, v[8:9], off glc
	s_cmpk_lt_u32 s22, 0xf43
	s_cselect_b32 s23, -1, 0
	s_delay_alu instid0(SALU_CYCLE_1) | instskip(SKIP_4) | instid1(SALU_CYCLE_1)
	s_cmp_lg_u32 s23, 0
	s_addc_u32 s22, s22, 0
	s_waitcnt vmcnt(0)
	v_cmp_ne_u32_e32 vcc_lo, 0, v14
	s_or_b32 s21, vcc_lo, s21
	s_and_not1_b32 exec_lo, exec_lo, s21
	s_cbranch_execz .LBB19_5
.LBB19_12:                              ;   Parent Loop BB19_8 Depth=1
                                        ; =>  This Loop Header: Depth=2
                                        ;       Child Loop BB19_13 Depth 3
	s_cmp_eq_u32 s22, 0
	s_mov_b32 s23, s22
	s_cbranch_scc1 .LBB19_11
.LBB19_13:                              ;   Parent Loop BB19_8 Depth=1
                                        ;     Parent Loop BB19_12 Depth=2
                                        ; =>    This Inner Loop Header: Depth=3
	s_add_i32 s23, s23, -1
	s_sleep 1
	s_cmp_eq_u32 s23, 0
	s_cbranch_scc0 .LBB19_13
	s_branch .LBB19_11
.LBB19_14:
	s_or_b32 exec_lo, exec_lo, s15
	s_delay_alu instid0(SALU_CYCLE_1)
	s_and_b32 s13, s16, exec_lo
.LBB19_15:
	s_or_b32 exec_lo, exec_lo, s14
	s_and_saveexec_b32 s0, s13
	s_cbranch_execz .LBB19_27
; %bb.16:
	s_mov_b32 s1, exec_lo
	v_cmpx_eq_u64_e64 v[6:7], v[1:2]
	s_cbranch_execz .LBB19_18
; %bb.17:
	v_add_co_u32 v8, vcc_lo, s8, v3
	v_add_co_ci_u32_e32 v9, vcc_lo, s9, v4, vcc_lo
	global_store_b32 v[8:9], v5, off
.LBB19_18:
	s_or_b32 exec_lo, exec_lo, s1
	s_delay_alu instid0(SALU_CYCLE_1)
	s_mov_b32 s1, exec_lo
	v_cmpx_lt_i64_e64 v[6:7], v[1:2]
	s_cbranch_execz .LBB19_26
; %bb.19:
	v_subrev_nc_u32_e32 v2, s12, v6
	s_mov_b32 s13, 0
	s_mov_b32 s12, exec_lo
	s_delay_alu instid0(VALU_DEP_1)
	v_lshlrev_b32_e32 v2, 2, v2
	ds_load_b32 v5, v2
	s_waitcnt lgkmcnt(0)
	v_cmpx_eq_u32_e32 0, v5
	s_cbranch_execz .LBB19_25
; %bb.20:
	s_mov_b32 s14, 0
	s_branch .LBB19_22
	.p2align	6
.LBB19_21:                              ;   in Loop: Header=BB19_22 Depth=1
	ds_load_b32 v5, v2
	s_cmpk_lt_u32 s14, 0xf43
	s_cselect_b32 s15, -1, 0
	s_delay_alu instid0(SALU_CYCLE_1) | instskip(SKIP_4) | instid1(SALU_CYCLE_1)
	s_cmp_lg_u32 s15, 0
	s_addc_u32 s14, s14, 0
	s_waitcnt lgkmcnt(0)
	v_cmp_ne_u32_e32 vcc_lo, 0, v5
	s_or_b32 s13, vcc_lo, s13
	s_and_not1_b32 exec_lo, exec_lo, s13
	s_cbranch_execz .LBB19_24
.LBB19_22:                              ; =>This Loop Header: Depth=1
                                        ;     Child Loop BB19_23 Depth 2
	s_cmp_eq_u32 s14, 0
	s_mov_b32 s15, s14
	s_cbranch_scc1 .LBB19_21
.LBB19_23:                              ;   Parent Loop BB19_22 Depth=1
                                        ; =>  This Inner Loop Header: Depth=2
	s_add_i32 s15, s15, -1
	s_sleep 1
	s_cmp_eq_u32 s15, 0
	s_cbranch_scc0 .LBB19_23
	s_branch .LBB19_21
.LBB19_24:
	s_or_b32 exec_lo, exec_lo, s13
.LBB19_25:
	s_delay_alu instid0(SALU_CYCLE_1)
	s_or_b32 exec_lo, exec_lo, s12
	v_max_i32_e32 v13, v5, v13
.LBB19_26:
	s_or_b32 exec_lo, exec_lo, s1
.LBB19_27:
	s_delay_alu instid0(SALU_CYCLE_1)
	s_or_b32 exec_lo, exec_lo, s0
	v_mbcnt_lo_u32_b32 v2, -1, 0
	s_waitcnt_vscnt null, 0x0
	buffer_gl0_inv
	v_or_b32_e32 v5, 32, v2
	v_xor_b32_e32 v6, 16, v2
	v_xor_b32_e32 v7, 8, v2
	s_delay_alu instid0(VALU_DEP_3) | instskip(SKIP_1) | instid1(VALU_DEP_4)
	v_cmp_gt_i32_e32 vcc_lo, 32, v5
	v_cndmask_b32_e32 v5, v2, v5, vcc_lo
	v_cmp_gt_i32_e32 vcc_lo, 32, v6
	v_cndmask_b32_e32 v6, v2, v6, vcc_lo
	;; [unrolled: 2-line block ×3, first 2 shown]
	s_delay_alu instid0(VALU_DEP_1) | instskip(NEXT) | instid1(VALU_DEP_4)
	v_lshlrev_b32_e32 v7, 2, v7
	v_lshlrev_b32_e32 v6, 2, v6
	;; [unrolled: 1-line block ×3, first 2 shown]
	ds_bpermute_b32 v5, v5, v13
	s_waitcnt lgkmcnt(0)
	v_max_i32_e32 v5, v13, v5
	ds_bpermute_b32 v6, v6, v5
	s_waitcnt lgkmcnt(0)
	v_max_i32_e32 v5, v5, v6
	ds_bpermute_b32 v6, v7, v5
	v_xor_b32_e32 v7, 4, v2
	s_delay_alu instid0(VALU_DEP_1) | instskip(SKIP_1) | instid1(VALU_DEP_1)
	v_cmp_gt_i32_e32 vcc_lo, 32, v7
	v_cndmask_b32_e32 v7, v2, v7, vcc_lo
	v_lshlrev_b32_e32 v7, 2, v7
	s_waitcnt lgkmcnt(0)
	v_max_i32_e32 v5, v5, v6
	ds_bpermute_b32 v6, v7, v5
	v_xor_b32_e32 v7, 2, v2
	s_delay_alu instid0(VALU_DEP_1) | instskip(SKIP_1) | instid1(VALU_DEP_1)
	v_cmp_gt_i32_e32 vcc_lo, 32, v7
	v_cndmask_b32_e32 v7, v2, v7, vcc_lo
	v_lshlrev_b32_e32 v7, 2, v7
	s_waitcnt lgkmcnt(0)
	v_max_i32_e32 v5, v5, v6
	ds_bpermute_b32 v6, v7, v5
	v_xor_b32_e32 v7, 1, v2
	s_delay_alu instid0(VALU_DEP_1) | instskip(SKIP_4) | instid1(VALU_DEP_3)
	v_cmp_gt_i32_e32 vcc_lo, 32, v7
	v_cndmask_b32_e32 v7, v2, v7, vcc_lo
	v_cmp_eq_u32_e32 vcc_lo, 63, v0
	s_waitcnt lgkmcnt(0)
	v_max_i32_e32 v2, v5, v6
	v_lshlrev_b32_e32 v5, 2, v7
	ds_bpermute_b32 v5, v5, v2
	s_and_b32 exec_lo, exec_lo, vcc_lo
	s_cbranch_execz .LBB19_37
; %bb.28:
	s_waitcnt lgkmcnt(0)
	v_max_i32_e32 v0, v2, v5
	v_add_co_u32 v5, vcc_lo, s10, v3
	v_add_co_ci_u32_e32 v6, vcc_lo, s11, v4, vcc_lo
	s_delay_alu instid0(VALU_DEP_3)
	v_add_nc_u32_e32 v2, 1, v0
	v_sub_nc_u32_e32 v0, v12, v11
	s_mov_b32 s1, exec_lo
	s_brev_b32 s0, 1
	ds_store_b32 v10, v2
	global_store_b32 v[5:6], v2, off
.LBB19_29:                              ; =>This Inner Loop Header: Depth=1
	s_ctz_i32_b32 s10, s1
	s_delay_alu instid0(SALU_CYCLE_1) | instskip(SKIP_1) | instid1(SALU_CYCLE_1)
	v_readlane_b32 s11, v0, s10
	s_lshl_b32 s10, 1, s10
	s_and_not1_b32 s1, s1, s10
	s_delay_alu instid0(VALU_DEP_1)
	s_max_i32 s0, s0, s11
	s_cmp_lg_u32 s1, 0
	s_cbranch_scc1 .LBB19_29
; %bb.30:
	v_mbcnt_lo_u32_b32 v0, exec_lo, 0
	s_mov_b32 s1, exec_lo
	s_delay_alu instid0(VALU_DEP_1)
	v_cmpx_eq_u32_e32 0, v0
	s_xor_b32 s1, exec_lo, s1
	s_cbranch_execz .LBB19_32
; %bb.31:
	v_mov_b32_e32 v0, 0
	v_mov_b32_e32 v2, s0
	global_atomic_max_i32 v0, v2, s[4:5]
.LBB19_32:
	s_or_b32 exec_lo, exec_lo, s1
	v_add_co_u32 v2, vcc_lo, s8, v3
	v_add_co_ci_u32_e32 v3, vcc_lo, s9, v4, vcc_lo
	s_cmp_eq_u32 s3, 0
	s_cselect_b32 s0, -1, 0
	global_load_b32 v0, v[2:3], off
	s_waitcnt vmcnt(0)
	v_cmp_eq_u32_e32 vcc_lo, -1, v0
	s_and_b32 s0, s0, vcc_lo
	s_delay_alu instid0(SALU_CYCLE_1)
	s_and_b32 exec_lo, exec_lo, s0
	s_cbranch_execz .LBB19_37
; %bb.33:
	v_add_co_u32 v0, s0, s2, v1
	s_delay_alu instid0(VALU_DEP_1)
	v_add_co_ci_u32_e64 v1, null, 0, 0, s0
	s_mov_b32 s3, exec_lo
	s_mov_b64 s[0:1], -1
.LBB19_34:                              ; =>This Inner Loop Header: Depth=1
	s_ctz_i32_b32 s2, s3
	s_delay_alu instid0(VALU_DEP_1) | instid1(SALU_CYCLE_1)
	v_readlane_b32 s5, v1, s2
	v_readlane_b32 s4, v0, s2
	s_delay_alu instid0(VALU_DEP_1) | instskip(NEXT) | instid1(VALU_DEP_1)
	v_cmp_lt_u64_e64 s8, s[0:1], s[4:5]
	s_and_b32 s8, s8, exec_lo
	s_cselect_b32 s1, s1, s5
	s_cselect_b32 s0, s0, s4
	s_lshl_b32 s2, 1, s2
	s_delay_alu instid0(SALU_CYCLE_1) | instskip(NEXT) | instid1(SALU_CYCLE_1)
	s_and_not1_b32 s3, s3, s2
	s_cmp_lg_u32 s3, 0
	s_cbranch_scc1 .LBB19_34
; %bb.35:
	v_mbcnt_lo_u32_b32 v0, exec_lo, 0
	s_mov_b32 s2, exec_lo
	s_delay_alu instid0(VALU_DEP_1)
	v_cmpx_eq_u32_e32 0, v0
	s_xor_b32 s2, exec_lo, s2
	s_cbranch_execz .LBB19_37
; %bb.36:
	v_mov_b32_e32 v0, s0
	v_dual_mov_b32 v2, 0 :: v_dual_mov_b32 v1, s1
	global_atomic_min_u64 v2, v[0:1], s[6:7]
.LBB19_37:
	s_nop 0
	s_sendmsg sendmsg(MSG_DEALLOC_VGPRS)
	s_endpgm
	.section	.rodata,"a",@progbits
	.p2align	6, 0x0
	.amdhsa_kernel _ZN9rocsparseL27csrsv_analysis_lower_kernelILj1024ELj64ELb1EilEEvT3_PKT2_PKS1_PS2_PiS7_PS1_21rocsparse_index_base_20rocsparse_diag_type_
		.amdhsa_group_segment_fixed_size 64
		.amdhsa_private_segment_fixed_size 0
		.amdhsa_kernarg_size 64
		.amdhsa_user_sgpr_count 15
		.amdhsa_user_sgpr_dispatch_ptr 0
		.amdhsa_user_sgpr_queue_ptr 0
		.amdhsa_user_sgpr_kernarg_segment_ptr 1
		.amdhsa_user_sgpr_dispatch_id 0
		.amdhsa_user_sgpr_private_segment_size 0
		.amdhsa_wavefront_size32 1
		.amdhsa_uses_dynamic_stack 0
		.amdhsa_enable_private_segment 0
		.amdhsa_system_sgpr_workgroup_id_x 1
		.amdhsa_system_sgpr_workgroup_id_y 0
		.amdhsa_system_sgpr_workgroup_id_z 0
		.amdhsa_system_sgpr_workgroup_info 0
		.amdhsa_system_vgpr_workitem_id 0
		.amdhsa_next_free_vgpr 15
		.amdhsa_next_free_sgpr 24
		.amdhsa_reserve_vcc 1
		.amdhsa_float_round_mode_32 0
		.amdhsa_float_round_mode_16_64 0
		.amdhsa_float_denorm_mode_32 3
		.amdhsa_float_denorm_mode_16_64 3
		.amdhsa_dx10_clamp 1
		.amdhsa_ieee_mode 1
		.amdhsa_fp16_overflow 0
		.amdhsa_workgroup_processor_mode 1
		.amdhsa_memory_ordered 1
		.amdhsa_forward_progress 0
		.amdhsa_shared_vgpr_count 0
		.amdhsa_exception_fp_ieee_invalid_op 0
		.amdhsa_exception_fp_denorm_src 0
		.amdhsa_exception_fp_ieee_div_zero 0
		.amdhsa_exception_fp_ieee_overflow 0
		.amdhsa_exception_fp_ieee_underflow 0
		.amdhsa_exception_fp_ieee_inexact 0
		.amdhsa_exception_int_div_zero 0
	.end_amdhsa_kernel
	.section	.text._ZN9rocsparseL27csrsv_analysis_lower_kernelILj1024ELj64ELb1EilEEvT3_PKT2_PKS1_PS2_PiS7_PS1_21rocsparse_index_base_20rocsparse_diag_type_,"axG",@progbits,_ZN9rocsparseL27csrsv_analysis_lower_kernelILj1024ELj64ELb1EilEEvT3_PKT2_PKS1_PS2_PiS7_PS1_21rocsparse_index_base_20rocsparse_diag_type_,comdat
.Lfunc_end19:
	.size	_ZN9rocsparseL27csrsv_analysis_lower_kernelILj1024ELj64ELb1EilEEvT3_PKT2_PKS1_PS2_PiS7_PS1_21rocsparse_index_base_20rocsparse_diag_type_, .Lfunc_end19-_ZN9rocsparseL27csrsv_analysis_lower_kernelILj1024ELj64ELb1EilEEvT3_PKT2_PKS1_PS2_PiS7_PS1_21rocsparse_index_base_20rocsparse_diag_type_
                                        ; -- End function
	.section	.AMDGPU.csdata,"",@progbits
; Kernel info:
; codeLenInByte = 1400
; NumSgprs: 26
; NumVgprs: 15
; ScratchSize: 0
; MemoryBound: 0
; FloatMode: 240
; IeeeMode: 1
; LDSByteSize: 64 bytes/workgroup (compile time only)
; SGPRBlocks: 3
; VGPRBlocks: 1
; NumSGPRsForWavesPerEU: 26
; NumVGPRsForWavesPerEU: 15
; Occupancy: 16
; WaveLimiterHint : 1
; COMPUTE_PGM_RSRC2:SCRATCH_EN: 0
; COMPUTE_PGM_RSRC2:USER_SGPR: 15
; COMPUTE_PGM_RSRC2:TRAP_HANDLER: 0
; COMPUTE_PGM_RSRC2:TGID_X_EN: 1
; COMPUTE_PGM_RSRC2:TGID_Y_EN: 0
; COMPUTE_PGM_RSRC2:TGID_Z_EN: 0
; COMPUTE_PGM_RSRC2:TIDIG_COMP_CNT: 0
	.section	.text._ZN9rocsparseL27csrsv_analysis_upper_kernelILj1024ELj32ELb0EilEEvT3_PKT2_PKS1_PS2_PiS7_PS1_21rocsparse_index_base_20rocsparse_diag_type_,"axG",@progbits,_ZN9rocsparseL27csrsv_analysis_upper_kernelILj1024ELj32ELb0EilEEvT3_PKT2_PKS1_PS2_PiS7_PS1_21rocsparse_index_base_20rocsparse_diag_type_,comdat
	.globl	_ZN9rocsparseL27csrsv_analysis_upper_kernelILj1024ELj32ELb0EilEEvT3_PKT2_PKS1_PS2_PiS7_PS1_21rocsparse_index_base_20rocsparse_diag_type_ ; -- Begin function _ZN9rocsparseL27csrsv_analysis_upper_kernelILj1024ELj32ELb0EilEEvT3_PKT2_PKS1_PS2_PiS7_PS1_21rocsparse_index_base_20rocsparse_diag_type_
	.p2align	8
	.type	_ZN9rocsparseL27csrsv_analysis_upper_kernelILj1024ELj32ELb0EilEEvT3_PKT2_PKS1_PS2_PiS7_PS1_21rocsparse_index_base_20rocsparse_diag_type_,@function
_ZN9rocsparseL27csrsv_analysis_upper_kernelILj1024ELj32ELb0EilEEvT3_PKT2_PKS1_PS2_PiS7_PS1_21rocsparse_index_base_20rocsparse_diag_type_: ; @_ZN9rocsparseL27csrsv_analysis_upper_kernelILj1024ELj32ELb0EilEEvT3_PKT2_PKS1_PS2_PiS7_PS1_21rocsparse_index_base_20rocsparse_diag_type_
; %bb.0:
	s_load_b64 s[2:3], s[0:1], 0x0
	s_mov_b32 s5, 0
	s_lshl_b32 s4, s15, 5
	v_lshrrev_b32_e32 v3, 5, v0
	s_not_b64 s[4:5], s[4:5]
	s_delay_alu instid0(VALU_DEP_1)
	v_lshlrev_b32_e32 v10, 2, v3
	s_waitcnt lgkmcnt(0)
	s_add_u32 s12, s4, s2
	s_addc_u32 s13, s5, s3
	v_sub_co_u32 v1, s2, s12, v3
	v_mov_b32_e32 v3, 0
	v_sub_co_ci_u32_e64 v2, null, s13, 0, s2
	s_mov_b32 s2, exec_lo
	ds_store_b32 v10, v3
	s_waitcnt lgkmcnt(0)
	s_barrier
	buffer_gl0_inv
	v_cmpx_lt_i64_e32 -1, v[1:2]
	s_cbranch_execz .LBB20_32
; %bb.1:
	s_clause 0x1
	s_load_b64 s[2:3], s[0:1], 0x8
	s_load_b128 s[8:11], s[0:1], 0x18
	v_lshlrev_b64 v[3:4], 2, v[1:2]
	v_and_b32_e32 v0, 31, v0
	s_mov_b32 s4, exec_lo
	s_delay_alu instid0(VALU_DEP_1)
	v_cmpx_eq_u32_e32 0, v0
	s_cbranch_execz .LBB20_3
; %bb.2:
	s_waitcnt lgkmcnt(0)
	v_add_co_u32 v5, vcc_lo, s8, v3
	v_add_co_ci_u32_e32 v6, vcc_lo, s9, v4, vcc_lo
	v_mov_b32_e32 v7, -1
	global_store_b32 v[5:6], v7, off
.LBB20_3:
	s_or_b32 exec_lo, exec_lo, s4
	s_waitcnt lgkmcnt(0)
	v_add_co_u32 v5, vcc_lo, s2, v3
	v_add_co_ci_u32_e32 v6, vcc_lo, s3, v4, vcc_lo
	s_mov_b32 s15, -1
	s_mov_b32 s14, exec_lo
	v_mov_b32_e32 v13, 0
	global_load_b64 v[5:6], v[5:6], off
	s_clause 0x1
	s_load_b64 s[2:3], s[0:1], 0x38
	s_load_b128 s[4:7], s[0:1], 0x28
	s_waitcnt vmcnt(0) lgkmcnt(0)
	v_subrev_nc_u32_e32 v11, s2, v6
	v_mov_b32_e32 v6, -1
	v_subrev_nc_u32_e32 v12, s2, v5
	v_mov_b32_e32 v7, -1
	s_delay_alu instid0(VALU_DEP_4) | instskip(NEXT) | instid1(VALU_DEP_1)
	v_xad_u32 v5, v0, -1, v11
	v_cmpx_ge_i32_e64 v5, v12
	s_cbranch_execz .LBB20_13
; %bb.4:
	s_load_b64 s[0:1], s[0:1], 0x10
	v_mov_b32_e32 v13, 0
	s_mov_b32 s15, 0
                                        ; implicit-def: $sgpr16
                                        ; implicit-def: $sgpr18
                                        ; implicit-def: $sgpr17
	s_branch .LBB20_7
.LBB20_5:                               ;   in Loop: Header=BB20_7 Depth=1
	s_or_b32 exec_lo, exec_lo, s20
	v_subrev_nc_u32_e32 v5, 32, v5
	v_max_i32_e32 v13, v14, v13
	s_and_not1_b32 s18, s18, exec_lo
	s_or_b32 s17, s17, exec_lo
	s_delay_alu instid0(VALU_DEP_2) | instskip(SKIP_1) | instid1(SALU_CYCLE_1)
	v_cmp_lt_i32_e32 vcc_lo, v5, v12
	s_and_b32 s20, vcc_lo, exec_lo
	s_or_b32 s18, s18, s20
.LBB20_6:                               ;   in Loop: Header=BB20_7 Depth=1
	s_or_b32 exec_lo, exec_lo, s19
	s_delay_alu instid0(SALU_CYCLE_1) | instskip(NEXT) | instid1(SALU_CYCLE_1)
	s_and_b32 s19, exec_lo, s18
	s_or_b32 s15, s19, s15
	s_and_not1_b32 s16, s16, exec_lo
	s_and_b32 s19, s17, exec_lo
	s_delay_alu instid0(SALU_CYCLE_1)
	s_or_b32 s16, s16, s19
	s_and_not1_b32 exec_lo, exec_lo, s15
	s_cbranch_execz .LBB20_12
.LBB20_7:                               ; =>This Loop Header: Depth=1
                                        ;     Child Loop BB20_10 Depth 2
	v_ashrrev_i32_e32 v6, 31, v5
	s_and_not1_b32 s17, s17, exec_lo
	s_or_b32 s18, s18, exec_lo
	s_mov_b32 s19, exec_lo
	s_delay_alu instid0(VALU_DEP_1) | instskip(SKIP_1) | instid1(VALU_DEP_1)
	v_lshlrev_b64 v[6:7], 3, v[5:6]
	s_waitcnt lgkmcnt(0)
	v_add_co_u32 v6, vcc_lo, s0, v6
	s_delay_alu instid0(VALU_DEP_2) | instskip(SKIP_4) | instid1(VALU_DEP_1)
	v_add_co_ci_u32_e32 v7, vcc_lo, s1, v7, vcc_lo
	global_load_b64 v[6:7], v[6:7], off slc dlc
	s_waitcnt vmcnt(0)
	v_sub_co_u32 v6, vcc_lo, v6, s2
	v_subrev_co_ci_u32_e32 v7, vcc_lo, 0, v7, vcc_lo
	v_cmpx_lt_i64_e64 s[12:13], v[6:7]
	s_cbranch_execz .LBB20_6
; %bb.8:                                ;   in Loop: Header=BB20_7 Depth=1
	v_lshlrev_b64 v[8:9], 2, v[6:7]
	s_mov_b32 s20, exec_lo
	s_delay_alu instid0(VALU_DEP_1) | instskip(NEXT) | instid1(VALU_DEP_2)
	v_add_co_u32 v8, vcc_lo, s10, v8
	v_add_co_ci_u32_e32 v9, vcc_lo, s11, v9, vcc_lo
	global_load_b32 v14, v[8:9], off glc
	s_waitcnt vmcnt(0)
	v_cmpx_eq_u32_e32 0, v14
	s_cbranch_execz .LBB20_5
; %bb.9:                                ;   in Loop: Header=BB20_7 Depth=1
	s_mov_b32 s21, 0
.LBB20_10:                              ;   Parent Loop BB20_7 Depth=1
                                        ; =>  This Inner Loop Header: Depth=2
	global_load_b32 v14, v[8:9], off glc
	s_waitcnt vmcnt(0)
	v_cmp_ne_u32_e32 vcc_lo, 0, v14
	s_or_b32 s21, vcc_lo, s21
	s_delay_alu instid0(SALU_CYCLE_1)
	s_and_not1_b32 exec_lo, exec_lo, s21
	s_cbranch_execnz .LBB20_10
; %bb.11:                               ;   in Loop: Header=BB20_7 Depth=1
	s_or_b32 exec_lo, exec_lo, s21
	s_branch .LBB20_5
.LBB20_12:
	s_or_b32 exec_lo, exec_lo, s15
	s_delay_alu instid0(SALU_CYCLE_1)
	s_or_not1_b32 s15, s16, exec_lo
.LBB20_13:
	s_or_b32 exec_lo, exec_lo, s14
	s_xor_b32 s1, s15, -1
	s_delay_alu instid0(SALU_CYCLE_1)
	s_and_saveexec_b32 s0, s1
	s_cbranch_execz .LBB20_22
; %bb.14:
	s_mov_b32 s1, exec_lo
	v_cmpx_eq_u64_e64 v[6:7], v[1:2]
	s_cbranch_execz .LBB20_16
; %bb.15:
	v_add_co_u32 v8, vcc_lo, s8, v3
	v_add_co_ci_u32_e32 v9, vcc_lo, s9, v4, vcc_lo
	global_store_b32 v[8:9], v5, off
.LBB20_16:
	s_or_b32 exec_lo, exec_lo, s1
	s_delay_alu instid0(SALU_CYCLE_1)
	s_mov_b32 s1, exec_lo
	v_cmpx_gt_i64_e64 v[6:7], v[1:2]
	s_cbranch_execz .LBB20_21
; %bb.17:
	v_sub_nc_u32_e32 v5, s12, v6
	s_mov_b32 s13, 0
	s_mov_b32 s12, exec_lo
	s_delay_alu instid0(VALU_DEP_1)
	v_lshlrev_b32_e32 v6, 2, v5
	ds_load_b32 v5, v6
	s_waitcnt lgkmcnt(0)
	v_cmpx_eq_u32_e32 0, v5
	s_cbranch_execz .LBB20_20
.LBB20_18:                              ; =>This Inner Loop Header: Depth=1
	ds_load_b32 v5, v6
	s_waitcnt lgkmcnt(0)
	v_cmp_ne_u32_e32 vcc_lo, 0, v5
	s_or_b32 s13, vcc_lo, s13
	s_delay_alu instid0(SALU_CYCLE_1)
	s_and_not1_b32 exec_lo, exec_lo, s13
	s_cbranch_execnz .LBB20_18
; %bb.19:
	s_or_b32 exec_lo, exec_lo, s13
.LBB20_20:
	s_delay_alu instid0(SALU_CYCLE_1)
	s_or_b32 exec_lo, exec_lo, s12
	v_max_i32_e32 v13, v5, v13
.LBB20_21:
	s_or_b32 exec_lo, exec_lo, s1
.LBB20_22:
	s_delay_alu instid0(SALU_CYCLE_1)
	s_or_b32 exec_lo, exec_lo, s0
	v_mbcnt_lo_u32_b32 v5, -1, 0
	s_waitcnt_vscnt null, 0x0
	buffer_gl0_inv
	v_xor_b32_e32 v6, 16, v5
	v_xor_b32_e32 v7, 8, v5
	;; [unrolled: 1-line block ×3, first 2 shown]
	s_delay_alu instid0(VALU_DEP_3) | instskip(SKIP_1) | instid1(VALU_DEP_4)
	v_cmp_gt_i32_e32 vcc_lo, 32, v6
	v_cndmask_b32_e32 v6, v5, v6, vcc_lo
	v_cmp_gt_i32_e32 vcc_lo, 32, v7
	v_cndmask_b32_e32 v7, v5, v7, vcc_lo
	;; [unrolled: 2-line block ×3, first 2 shown]
	s_delay_alu instid0(VALU_DEP_1) | instskip(NEXT) | instid1(VALU_DEP_4)
	v_lshlrev_b32_e32 v8, 2, v8
	v_lshlrev_b32_e32 v7, 2, v7
	;; [unrolled: 1-line block ×3, first 2 shown]
	ds_bpermute_b32 v6, v6, v13
	s_waitcnt lgkmcnt(0)
	v_max_i32_e32 v6, v13, v6
	ds_bpermute_b32 v7, v7, v6
	s_waitcnt lgkmcnt(0)
	v_max_i32_e32 v6, v6, v7
	ds_bpermute_b32 v7, v8, v6
	v_xor_b32_e32 v8, 2, v5
	s_delay_alu instid0(VALU_DEP_1) | instskip(SKIP_1) | instid1(VALU_DEP_1)
	v_cmp_gt_i32_e32 vcc_lo, 32, v8
	v_cndmask_b32_e32 v8, v5, v8, vcc_lo
	v_lshlrev_b32_e32 v8, 2, v8
	s_waitcnt lgkmcnt(0)
	v_max_i32_e32 v6, v6, v7
	ds_bpermute_b32 v7, v8, v6
	v_xor_b32_e32 v8, 1, v5
	s_delay_alu instid0(VALU_DEP_1) | instskip(SKIP_4) | instid1(VALU_DEP_3)
	v_cmp_gt_i32_e32 vcc_lo, 32, v8
	v_cndmask_b32_e32 v8, v5, v8, vcc_lo
	v_cmp_eq_u32_e32 vcc_lo, 31, v0
	s_waitcnt lgkmcnt(0)
	v_max_i32_e32 v5, v6, v7
	v_lshlrev_b32_e32 v6, 2, v8
	ds_bpermute_b32 v6, v6, v5
	s_and_b32 exec_lo, exec_lo, vcc_lo
	s_cbranch_execz .LBB20_32
; %bb.23:
	s_waitcnt lgkmcnt(0)
	v_max_i32_e32 v0, v5, v6
	v_add_co_u32 v5, vcc_lo, s10, v3
	v_add_co_ci_u32_e32 v6, vcc_lo, s11, v4, vcc_lo
	s_delay_alu instid0(VALU_DEP_3)
	v_add_nc_u32_e32 v7, 1, v0
	v_sub_nc_u32_e32 v0, v11, v12
	s_mov_b32 s1, exec_lo
	s_brev_b32 s0, 1
	ds_store_b32 v10, v7
	global_store_b32 v[5:6], v7, off
.LBB20_24:                              ; =>This Inner Loop Header: Depth=1
	s_ctz_i32_b32 s10, s1
	s_delay_alu instid0(SALU_CYCLE_1) | instskip(SKIP_1) | instid1(SALU_CYCLE_1)
	v_readlane_b32 s11, v0, s10
	s_lshl_b32 s10, 1, s10
	s_and_not1_b32 s1, s1, s10
	s_delay_alu instid0(VALU_DEP_1)
	s_max_i32 s0, s0, s11
	s_cmp_lg_u32 s1, 0
	s_cbranch_scc1 .LBB20_24
; %bb.25:
	v_mbcnt_lo_u32_b32 v0, exec_lo, 0
	s_mov_b32 s1, exec_lo
	s_delay_alu instid0(VALU_DEP_1)
	v_cmpx_eq_u32_e32 0, v0
	s_xor_b32 s1, exec_lo, s1
	s_cbranch_execz .LBB20_27
; %bb.26:
	v_dual_mov_b32 v0, 0 :: v_dual_mov_b32 v5, s0
	global_atomic_max_i32 v0, v5, s[4:5]
.LBB20_27:
	s_or_b32 exec_lo, exec_lo, s1
	v_add_co_u32 v3, vcc_lo, s8, v3
	v_add_co_ci_u32_e32 v4, vcc_lo, s9, v4, vcc_lo
	s_cmp_eq_u32 s3, 0
	s_cselect_b32 s0, -1, 0
	global_load_b32 v0, v[3:4], off
	s_waitcnt vmcnt(0)
	v_cmp_eq_u32_e32 vcc_lo, -1, v0
	s_and_b32 s0, s0, vcc_lo
	s_delay_alu instid0(SALU_CYCLE_1)
	s_and_b32 exec_lo, exec_lo, s0
	s_cbranch_execz .LBB20_32
; %bb.28:
	v_add_co_u32 v0, vcc_lo, v1, s2
	v_add_co_ci_u32_e32 v1, vcc_lo, 0, v2, vcc_lo
	s_mov_b32 s3, exec_lo
	s_mov_b64 s[0:1], -1
.LBB20_29:                              ; =>This Inner Loop Header: Depth=1
	s_ctz_i32_b32 s2, s3
	s_delay_alu instid0(VALU_DEP_1) | instid1(SALU_CYCLE_1)
	v_readlane_b32 s5, v1, s2
	v_readlane_b32 s4, v0, s2
	s_delay_alu instid0(VALU_DEP_1) | instskip(NEXT) | instid1(VALU_DEP_1)
	v_cmp_lt_u64_e64 s8, s[0:1], s[4:5]
	s_and_b32 s8, s8, exec_lo
	s_cselect_b32 s1, s1, s5
	s_cselect_b32 s0, s0, s4
	s_lshl_b32 s2, 1, s2
	s_delay_alu instid0(SALU_CYCLE_1) | instskip(NEXT) | instid1(SALU_CYCLE_1)
	s_and_not1_b32 s3, s3, s2
	s_cmp_lg_u32 s3, 0
	s_cbranch_scc1 .LBB20_29
; %bb.30:
	v_mbcnt_lo_u32_b32 v0, exec_lo, 0
	s_mov_b32 s2, exec_lo
	s_delay_alu instid0(VALU_DEP_1)
	v_cmpx_eq_u32_e32 0, v0
	s_xor_b32 s2, exec_lo, s2
	s_cbranch_execz .LBB20_32
; %bb.31:
	v_mov_b32_e32 v0, s0
	v_dual_mov_b32 v2, 0 :: v_dual_mov_b32 v1, s1
	global_atomic_min_u64 v2, v[0:1], s[6:7]
.LBB20_32:
	s_nop 0
	s_sendmsg sendmsg(MSG_DEALLOC_VGPRS)
	s_endpgm
	.section	.rodata,"a",@progbits
	.p2align	6, 0x0
	.amdhsa_kernel _ZN9rocsparseL27csrsv_analysis_upper_kernelILj1024ELj32ELb0EilEEvT3_PKT2_PKS1_PS2_PiS7_PS1_21rocsparse_index_base_20rocsparse_diag_type_
		.amdhsa_group_segment_fixed_size 128
		.amdhsa_private_segment_fixed_size 0
		.amdhsa_kernarg_size 64
		.amdhsa_user_sgpr_count 15
		.amdhsa_user_sgpr_dispatch_ptr 0
		.amdhsa_user_sgpr_queue_ptr 0
		.amdhsa_user_sgpr_kernarg_segment_ptr 1
		.amdhsa_user_sgpr_dispatch_id 0
		.amdhsa_user_sgpr_private_segment_size 0
		.amdhsa_wavefront_size32 1
		.amdhsa_uses_dynamic_stack 0
		.amdhsa_enable_private_segment 0
		.amdhsa_system_sgpr_workgroup_id_x 1
		.amdhsa_system_sgpr_workgroup_id_y 0
		.amdhsa_system_sgpr_workgroup_id_z 0
		.amdhsa_system_sgpr_workgroup_info 0
		.amdhsa_system_vgpr_workitem_id 0
		.amdhsa_next_free_vgpr 15
		.amdhsa_next_free_sgpr 22
		.amdhsa_reserve_vcc 1
		.amdhsa_float_round_mode_32 0
		.amdhsa_float_round_mode_16_64 0
		.amdhsa_float_denorm_mode_32 3
		.amdhsa_float_denorm_mode_16_64 3
		.amdhsa_dx10_clamp 1
		.amdhsa_ieee_mode 1
		.amdhsa_fp16_overflow 0
		.amdhsa_workgroup_processor_mode 1
		.amdhsa_memory_ordered 1
		.amdhsa_forward_progress 0
		.amdhsa_shared_vgpr_count 0
		.amdhsa_exception_fp_ieee_invalid_op 0
		.amdhsa_exception_fp_denorm_src 0
		.amdhsa_exception_fp_ieee_div_zero 0
		.amdhsa_exception_fp_ieee_overflow 0
		.amdhsa_exception_fp_ieee_underflow 0
		.amdhsa_exception_fp_ieee_inexact 0
		.amdhsa_exception_int_div_zero 0
	.end_amdhsa_kernel
	.section	.text._ZN9rocsparseL27csrsv_analysis_upper_kernelILj1024ELj32ELb0EilEEvT3_PKT2_PKS1_PS2_PiS7_PS1_21rocsparse_index_base_20rocsparse_diag_type_,"axG",@progbits,_ZN9rocsparseL27csrsv_analysis_upper_kernelILj1024ELj32ELb0EilEEvT3_PKT2_PKS1_PS2_PiS7_PS1_21rocsparse_index_base_20rocsparse_diag_type_,comdat
.Lfunc_end20:
	.size	_ZN9rocsparseL27csrsv_analysis_upper_kernelILj1024ELj32ELb0EilEEvT3_PKT2_PKS1_PS2_PiS7_PS1_21rocsparse_index_base_20rocsparse_diag_type_, .Lfunc_end20-_ZN9rocsparseL27csrsv_analysis_upper_kernelILj1024ELj32ELb0EilEEvT3_PKT2_PKS1_PS2_PiS7_PS1_21rocsparse_index_base_20rocsparse_diag_type_
                                        ; -- End function
	.section	.AMDGPU.csdata,"",@progbits
; Kernel info:
; codeLenInByte = 1288
; NumSgprs: 24
; NumVgprs: 15
; ScratchSize: 0
; MemoryBound: 0
; FloatMode: 240
; IeeeMode: 1
; LDSByteSize: 128 bytes/workgroup (compile time only)
; SGPRBlocks: 2
; VGPRBlocks: 1
; NumSGPRsForWavesPerEU: 24
; NumVGPRsForWavesPerEU: 15
; Occupancy: 16
; WaveLimiterHint : 1
; COMPUTE_PGM_RSRC2:SCRATCH_EN: 0
; COMPUTE_PGM_RSRC2:USER_SGPR: 15
; COMPUTE_PGM_RSRC2:TRAP_HANDLER: 0
; COMPUTE_PGM_RSRC2:TGID_X_EN: 1
; COMPUTE_PGM_RSRC2:TGID_Y_EN: 0
; COMPUTE_PGM_RSRC2:TGID_Z_EN: 0
; COMPUTE_PGM_RSRC2:TIDIG_COMP_CNT: 0
	.section	.text._ZN9rocsparseL27csrsv_analysis_lower_kernelILj1024ELj32ELb0EilEEvT3_PKT2_PKS1_PS2_PiS7_PS1_21rocsparse_index_base_20rocsparse_diag_type_,"axG",@progbits,_ZN9rocsparseL27csrsv_analysis_lower_kernelILj1024ELj32ELb0EilEEvT3_PKT2_PKS1_PS2_PiS7_PS1_21rocsparse_index_base_20rocsparse_diag_type_,comdat
	.globl	_ZN9rocsparseL27csrsv_analysis_lower_kernelILj1024ELj32ELb0EilEEvT3_PKT2_PKS1_PS2_PiS7_PS1_21rocsparse_index_base_20rocsparse_diag_type_ ; -- Begin function _ZN9rocsparseL27csrsv_analysis_lower_kernelILj1024ELj32ELb0EilEEvT3_PKT2_PKS1_PS2_PiS7_PS1_21rocsparse_index_base_20rocsparse_diag_type_
	.p2align	8
	.type	_ZN9rocsparseL27csrsv_analysis_lower_kernelILj1024ELj32ELb0EilEEvT3_PKT2_PKS1_PS2_PiS7_PS1_21rocsparse_index_base_20rocsparse_diag_type_,@function
_ZN9rocsparseL27csrsv_analysis_lower_kernelILj1024ELj32ELb0EilEEvT3_PKT2_PKS1_PS2_PiS7_PS1_21rocsparse_index_base_20rocsparse_diag_type_: ; @_ZN9rocsparseL27csrsv_analysis_lower_kernelILj1024ELj32ELb0EilEEvT3_PKT2_PKS1_PS2_PiS7_PS1_21rocsparse_index_base_20rocsparse_diag_type_
; %bb.0:
	s_load_b64 s[2:3], s[0:1], 0x0
	v_lshrrev_b32_e32 v3, 5, v0
	s_lshl_b32 s12, s15, 5
	v_mov_b32_e32 v2, 0
	s_delay_alu instid0(VALU_DEP_2)
	v_or_b32_e32 v1, s12, v3
	v_lshlrev_b32_e32 v10, 2, v3
	ds_store_b32 v10, v2
	s_waitcnt lgkmcnt(0)
	s_barrier
	buffer_gl0_inv
	v_cmp_gt_i64_e32 vcc_lo, s[2:3], v[1:2]
	s_and_saveexec_b32 s2, vcc_lo
	s_cbranch_execz .LBB21_32
; %bb.1:
	s_clause 0x1
	s_load_b64 s[2:3], s[0:1], 0x8
	s_load_b128 s[8:11], s[0:1], 0x18
	v_lshlrev_b64 v[3:4], 2, v[1:2]
	v_and_b32_e32 v0, 31, v0
	s_mov_b32 s13, 0
	s_mov_b32 s4, exec_lo
	s_delay_alu instid0(VALU_DEP_1)
	v_cmpx_eq_u32_e32 0, v0
	s_cbranch_execz .LBB21_3
; %bb.2:
	s_waitcnt lgkmcnt(0)
	v_add_co_u32 v5, vcc_lo, s8, v3
	v_add_co_ci_u32_e32 v6, vcc_lo, s9, v4, vcc_lo
	v_mov_b32_e32 v7, -1
	global_store_b32 v[5:6], v7, off
.LBB21_3:
	s_or_b32 exec_lo, exec_lo, s4
	s_waitcnt lgkmcnt(0)
	v_add_co_u32 v5, vcc_lo, s2, v3
	v_add_co_ci_u32_e32 v6, vcc_lo, s3, v4, vcc_lo
	v_mov_b32_e32 v13, 0
	s_mov_b32 s14, exec_lo
	global_load_b64 v[5:6], v[5:6], off
	s_clause 0x1
	s_load_b64 s[2:3], s[0:1], 0x38
	s_load_b128 s[4:7], s[0:1], 0x28
	s_waitcnt vmcnt(0) lgkmcnt(0)
	v_subrev_nc_u32_e32 v11, s2, v5
	v_subrev_nc_u32_e32 v12, s2, v6
	v_mov_b32_e32 v6, -1
	v_mov_b32_e32 v7, -1
	s_delay_alu instid0(VALU_DEP_4) | instskip(NEXT) | instid1(VALU_DEP_1)
	v_add_nc_u32_e32 v5, v11, v0
	v_cmpx_lt_i32_e64 v5, v12
	s_cbranch_execz .LBB21_13
; %bb.4:
	s_load_b64 s[0:1], s[0:1], 0x10
	v_mov_b32_e32 v13, 0
	s_mov_b32 s15, 0
                                        ; implicit-def: $sgpr16
                                        ; implicit-def: $sgpr18
                                        ; implicit-def: $sgpr17
	s_branch .LBB21_7
.LBB21_5:                               ;   in Loop: Header=BB21_7 Depth=1
	s_or_b32 exec_lo, exec_lo, s20
	v_add_nc_u32_e32 v5, 32, v5
	v_max_i32_e32 v13, v14, v13
	s_and_not1_b32 s18, s18, exec_lo
	s_and_not1_b32 s17, s17, exec_lo
	s_delay_alu instid0(VALU_DEP_2) | instskip(SKIP_1) | instid1(SALU_CYCLE_1)
	v_cmp_ge_i32_e32 vcc_lo, v5, v12
	s_and_b32 s20, vcc_lo, exec_lo
	s_or_b32 s18, s18, s20
.LBB21_6:                               ;   in Loop: Header=BB21_7 Depth=1
	s_or_b32 exec_lo, exec_lo, s19
	s_delay_alu instid0(SALU_CYCLE_1) | instskip(NEXT) | instid1(SALU_CYCLE_1)
	s_and_b32 s19, exec_lo, s18
	s_or_b32 s15, s19, s15
	s_and_not1_b32 s16, s16, exec_lo
	s_and_b32 s19, s17, exec_lo
	s_delay_alu instid0(SALU_CYCLE_1)
	s_or_b32 s16, s16, s19
	s_and_not1_b32 exec_lo, exec_lo, s15
	s_cbranch_execz .LBB21_12
.LBB21_7:                               ; =>This Loop Header: Depth=1
                                        ;     Child Loop BB21_10 Depth 2
	v_ashrrev_i32_e32 v6, 31, v5
	s_or_b32 s17, s17, exec_lo
	s_or_b32 s18, s18, exec_lo
	s_mov_b32 s19, exec_lo
	s_delay_alu instid0(VALU_DEP_1) | instskip(SKIP_1) | instid1(VALU_DEP_1)
	v_lshlrev_b64 v[6:7], 3, v[5:6]
	s_waitcnt lgkmcnt(0)
	v_add_co_u32 v6, vcc_lo, s0, v6
	s_delay_alu instid0(VALU_DEP_2) | instskip(SKIP_4) | instid1(VALU_DEP_1)
	v_add_co_ci_u32_e32 v7, vcc_lo, s1, v7, vcc_lo
	global_load_b64 v[6:7], v[6:7], off slc dlc
	s_waitcnt vmcnt(0)
	v_sub_co_u32 v6, vcc_lo, v6, s2
	v_subrev_co_ci_u32_e32 v7, vcc_lo, 0, v7, vcc_lo
	v_cmpx_gt_i64_e64 s[12:13], v[6:7]
	s_cbranch_execz .LBB21_6
; %bb.8:                                ;   in Loop: Header=BB21_7 Depth=1
	v_lshlrev_b64 v[8:9], 2, v[6:7]
	s_mov_b32 s20, exec_lo
	s_delay_alu instid0(VALU_DEP_1) | instskip(NEXT) | instid1(VALU_DEP_2)
	v_add_co_u32 v8, vcc_lo, s10, v8
	v_add_co_ci_u32_e32 v9, vcc_lo, s11, v9, vcc_lo
	global_load_b32 v14, v[8:9], off glc
	s_waitcnt vmcnt(0)
	v_cmpx_eq_u32_e32 0, v14
	s_cbranch_execz .LBB21_5
; %bb.9:                                ;   in Loop: Header=BB21_7 Depth=1
	s_mov_b32 s21, 0
.LBB21_10:                              ;   Parent Loop BB21_7 Depth=1
                                        ; =>  This Inner Loop Header: Depth=2
	global_load_b32 v14, v[8:9], off glc
	s_waitcnt vmcnt(0)
	v_cmp_ne_u32_e32 vcc_lo, 0, v14
	s_or_b32 s21, vcc_lo, s21
	s_delay_alu instid0(SALU_CYCLE_1)
	s_and_not1_b32 exec_lo, exec_lo, s21
	s_cbranch_execnz .LBB21_10
; %bb.11:                               ;   in Loop: Header=BB21_7 Depth=1
	s_or_b32 exec_lo, exec_lo, s21
	s_branch .LBB21_5
.LBB21_12:
	s_or_b32 exec_lo, exec_lo, s15
	s_delay_alu instid0(SALU_CYCLE_1)
	s_and_b32 s13, s16, exec_lo
.LBB21_13:
	s_or_b32 exec_lo, exec_lo, s14
	s_and_saveexec_b32 s0, s13
	s_cbranch_execz .LBB21_22
; %bb.14:
	s_mov_b32 s1, exec_lo
	v_cmpx_eq_u64_e64 v[6:7], v[1:2]
	s_cbranch_execz .LBB21_16
; %bb.15:
	v_add_co_u32 v8, vcc_lo, s8, v3
	v_add_co_ci_u32_e32 v9, vcc_lo, s9, v4, vcc_lo
	global_store_b32 v[8:9], v5, off
.LBB21_16:
	s_or_b32 exec_lo, exec_lo, s1
	s_delay_alu instid0(SALU_CYCLE_1)
	s_mov_b32 s1, exec_lo
	v_cmpx_lt_i64_e64 v[6:7], v[1:2]
	s_cbranch_execz .LBB21_21
; %bb.17:
	v_subrev_nc_u32_e32 v2, s12, v6
	s_mov_b32 s13, 0
	s_mov_b32 s12, exec_lo
	s_delay_alu instid0(VALU_DEP_1)
	v_lshlrev_b32_e32 v5, 2, v2
	ds_load_b32 v2, v5
	s_waitcnt lgkmcnt(0)
	v_cmpx_eq_u32_e32 0, v2
	s_cbranch_execz .LBB21_20
.LBB21_18:                              ; =>This Inner Loop Header: Depth=1
	ds_load_b32 v2, v5
	s_waitcnt lgkmcnt(0)
	v_cmp_ne_u32_e32 vcc_lo, 0, v2
	s_or_b32 s13, vcc_lo, s13
	s_delay_alu instid0(SALU_CYCLE_1)
	s_and_not1_b32 exec_lo, exec_lo, s13
	s_cbranch_execnz .LBB21_18
; %bb.19:
	s_or_b32 exec_lo, exec_lo, s13
.LBB21_20:
	s_delay_alu instid0(SALU_CYCLE_1)
	s_or_b32 exec_lo, exec_lo, s12
	v_max_i32_e32 v13, v2, v13
.LBB21_21:
	s_or_b32 exec_lo, exec_lo, s1
.LBB21_22:
	s_delay_alu instid0(SALU_CYCLE_1)
	s_or_b32 exec_lo, exec_lo, s0
	v_mbcnt_lo_u32_b32 v2, -1, 0
	s_waitcnt_vscnt null, 0x0
	buffer_gl0_inv
	v_xor_b32_e32 v5, 16, v2
	v_xor_b32_e32 v6, 8, v2
	;; [unrolled: 1-line block ×3, first 2 shown]
	s_delay_alu instid0(VALU_DEP_3) | instskip(SKIP_1) | instid1(VALU_DEP_4)
	v_cmp_gt_i32_e32 vcc_lo, 32, v5
	v_cndmask_b32_e32 v5, v2, v5, vcc_lo
	v_cmp_gt_i32_e32 vcc_lo, 32, v6
	v_cndmask_b32_e32 v6, v2, v6, vcc_lo
	;; [unrolled: 2-line block ×3, first 2 shown]
	s_delay_alu instid0(VALU_DEP_1) | instskip(NEXT) | instid1(VALU_DEP_4)
	v_lshlrev_b32_e32 v7, 2, v7
	v_lshlrev_b32_e32 v6, 2, v6
	;; [unrolled: 1-line block ×3, first 2 shown]
	ds_bpermute_b32 v5, v5, v13
	s_waitcnt lgkmcnt(0)
	v_max_i32_e32 v5, v13, v5
	ds_bpermute_b32 v6, v6, v5
	s_waitcnt lgkmcnt(0)
	v_max_i32_e32 v5, v5, v6
	ds_bpermute_b32 v6, v7, v5
	v_xor_b32_e32 v7, 2, v2
	s_delay_alu instid0(VALU_DEP_1) | instskip(SKIP_1) | instid1(VALU_DEP_1)
	v_cmp_gt_i32_e32 vcc_lo, 32, v7
	v_cndmask_b32_e32 v7, v2, v7, vcc_lo
	v_lshlrev_b32_e32 v7, 2, v7
	s_waitcnt lgkmcnt(0)
	v_max_i32_e32 v5, v5, v6
	ds_bpermute_b32 v6, v7, v5
	v_xor_b32_e32 v7, 1, v2
	s_delay_alu instid0(VALU_DEP_1) | instskip(SKIP_4) | instid1(VALU_DEP_3)
	v_cmp_gt_i32_e32 vcc_lo, 32, v7
	v_cndmask_b32_e32 v7, v2, v7, vcc_lo
	v_cmp_eq_u32_e32 vcc_lo, 31, v0
	s_waitcnt lgkmcnt(0)
	v_max_i32_e32 v2, v5, v6
	v_lshlrev_b32_e32 v5, 2, v7
	ds_bpermute_b32 v5, v5, v2
	s_and_b32 exec_lo, exec_lo, vcc_lo
	s_cbranch_execz .LBB21_32
; %bb.23:
	s_waitcnt lgkmcnt(0)
	v_max_i32_e32 v0, v2, v5
	v_add_co_u32 v5, vcc_lo, s10, v3
	v_add_co_ci_u32_e32 v6, vcc_lo, s11, v4, vcc_lo
	s_delay_alu instid0(VALU_DEP_3)
	v_add_nc_u32_e32 v2, 1, v0
	v_sub_nc_u32_e32 v0, v12, v11
	s_mov_b32 s1, exec_lo
	s_brev_b32 s0, 1
	ds_store_b32 v10, v2
	global_store_b32 v[5:6], v2, off
.LBB21_24:                              ; =>This Inner Loop Header: Depth=1
	s_ctz_i32_b32 s10, s1
	s_delay_alu instid0(SALU_CYCLE_1) | instskip(SKIP_1) | instid1(SALU_CYCLE_1)
	v_readlane_b32 s11, v0, s10
	s_lshl_b32 s10, 1, s10
	s_and_not1_b32 s1, s1, s10
	s_delay_alu instid0(VALU_DEP_1)
	s_max_i32 s0, s0, s11
	s_cmp_lg_u32 s1, 0
	s_cbranch_scc1 .LBB21_24
; %bb.25:
	v_mbcnt_lo_u32_b32 v0, exec_lo, 0
	s_mov_b32 s1, exec_lo
	s_delay_alu instid0(VALU_DEP_1)
	v_cmpx_eq_u32_e32 0, v0
	s_xor_b32 s1, exec_lo, s1
	s_cbranch_execz .LBB21_27
; %bb.26:
	v_mov_b32_e32 v0, 0
	v_mov_b32_e32 v2, s0
	global_atomic_max_i32 v0, v2, s[4:5]
.LBB21_27:
	s_or_b32 exec_lo, exec_lo, s1
	v_add_co_u32 v2, vcc_lo, s8, v3
	v_add_co_ci_u32_e32 v3, vcc_lo, s9, v4, vcc_lo
	s_cmp_eq_u32 s3, 0
	s_cselect_b32 s0, -1, 0
	global_load_b32 v0, v[2:3], off
	s_waitcnt vmcnt(0)
	v_cmp_eq_u32_e32 vcc_lo, -1, v0
	s_and_b32 s0, s0, vcc_lo
	s_delay_alu instid0(SALU_CYCLE_1)
	s_and_b32 exec_lo, exec_lo, s0
	s_cbranch_execz .LBB21_32
; %bb.28:
	v_add_co_u32 v0, s0, s2, v1
	s_delay_alu instid0(VALU_DEP_1)
	v_add_co_ci_u32_e64 v1, null, 0, 0, s0
	s_mov_b32 s3, exec_lo
	s_mov_b64 s[0:1], -1
.LBB21_29:                              ; =>This Inner Loop Header: Depth=1
	s_ctz_i32_b32 s2, s3
	s_delay_alu instid0(VALU_DEP_1) | instid1(SALU_CYCLE_1)
	v_readlane_b32 s5, v1, s2
	v_readlane_b32 s4, v0, s2
	s_delay_alu instid0(VALU_DEP_1) | instskip(NEXT) | instid1(VALU_DEP_1)
	v_cmp_lt_u64_e64 s8, s[0:1], s[4:5]
	s_and_b32 s8, s8, exec_lo
	s_cselect_b32 s1, s1, s5
	s_cselect_b32 s0, s0, s4
	s_lshl_b32 s2, 1, s2
	s_delay_alu instid0(SALU_CYCLE_1) | instskip(NEXT) | instid1(SALU_CYCLE_1)
	s_and_not1_b32 s3, s3, s2
	s_cmp_lg_u32 s3, 0
	s_cbranch_scc1 .LBB21_29
; %bb.30:
	v_mbcnt_lo_u32_b32 v0, exec_lo, 0
	s_mov_b32 s2, exec_lo
	s_delay_alu instid0(VALU_DEP_1)
	v_cmpx_eq_u32_e32 0, v0
	s_xor_b32 s2, exec_lo, s2
	s_cbranch_execz .LBB21_32
; %bb.31:
	v_mov_b32_e32 v0, s0
	v_dual_mov_b32 v2, 0 :: v_dual_mov_b32 v1, s1
	global_atomic_min_u64 v2, v[0:1], s[6:7]
.LBB21_32:
	s_nop 0
	s_sendmsg sendmsg(MSG_DEALLOC_VGPRS)
	s_endpgm
	.section	.rodata,"a",@progbits
	.p2align	6, 0x0
	.amdhsa_kernel _ZN9rocsparseL27csrsv_analysis_lower_kernelILj1024ELj32ELb0EilEEvT3_PKT2_PKS1_PS2_PiS7_PS1_21rocsparse_index_base_20rocsparse_diag_type_
		.amdhsa_group_segment_fixed_size 128
		.amdhsa_private_segment_fixed_size 0
		.amdhsa_kernarg_size 64
		.amdhsa_user_sgpr_count 15
		.amdhsa_user_sgpr_dispatch_ptr 0
		.amdhsa_user_sgpr_queue_ptr 0
		.amdhsa_user_sgpr_kernarg_segment_ptr 1
		.amdhsa_user_sgpr_dispatch_id 0
		.amdhsa_user_sgpr_private_segment_size 0
		.amdhsa_wavefront_size32 1
		.amdhsa_uses_dynamic_stack 0
		.amdhsa_enable_private_segment 0
		.amdhsa_system_sgpr_workgroup_id_x 1
		.amdhsa_system_sgpr_workgroup_id_y 0
		.amdhsa_system_sgpr_workgroup_id_z 0
		.amdhsa_system_sgpr_workgroup_info 0
		.amdhsa_system_vgpr_workitem_id 0
		.amdhsa_next_free_vgpr 15
		.amdhsa_next_free_sgpr 22
		.amdhsa_reserve_vcc 1
		.amdhsa_float_round_mode_32 0
		.amdhsa_float_round_mode_16_64 0
		.amdhsa_float_denorm_mode_32 3
		.amdhsa_float_denorm_mode_16_64 3
		.amdhsa_dx10_clamp 1
		.amdhsa_ieee_mode 1
		.amdhsa_fp16_overflow 0
		.amdhsa_workgroup_processor_mode 1
		.amdhsa_memory_ordered 1
		.amdhsa_forward_progress 0
		.amdhsa_shared_vgpr_count 0
		.amdhsa_exception_fp_ieee_invalid_op 0
		.amdhsa_exception_fp_denorm_src 0
		.amdhsa_exception_fp_ieee_div_zero 0
		.amdhsa_exception_fp_ieee_overflow 0
		.amdhsa_exception_fp_ieee_underflow 0
		.amdhsa_exception_fp_ieee_inexact 0
		.amdhsa_exception_int_div_zero 0
	.end_amdhsa_kernel
	.section	.text._ZN9rocsparseL27csrsv_analysis_lower_kernelILj1024ELj32ELb0EilEEvT3_PKT2_PKS1_PS2_PiS7_PS1_21rocsparse_index_base_20rocsparse_diag_type_,"axG",@progbits,_ZN9rocsparseL27csrsv_analysis_lower_kernelILj1024ELj32ELb0EilEEvT3_PKT2_PKS1_PS2_PiS7_PS1_21rocsparse_index_base_20rocsparse_diag_type_,comdat
.Lfunc_end21:
	.size	_ZN9rocsparseL27csrsv_analysis_lower_kernelILj1024ELj32ELb0EilEEvT3_PKT2_PKS1_PS2_PiS7_PS1_21rocsparse_index_base_20rocsparse_diag_type_, .Lfunc_end21-_ZN9rocsparseL27csrsv_analysis_lower_kernelILj1024ELj32ELb0EilEEvT3_PKT2_PKS1_PS2_PiS7_PS1_21rocsparse_index_base_20rocsparse_diag_type_
                                        ; -- End function
	.section	.AMDGPU.csdata,"",@progbits
; Kernel info:
; codeLenInByte = 1252
; NumSgprs: 24
; NumVgprs: 15
; ScratchSize: 0
; MemoryBound: 0
; FloatMode: 240
; IeeeMode: 1
; LDSByteSize: 128 bytes/workgroup (compile time only)
; SGPRBlocks: 2
; VGPRBlocks: 1
; NumSGPRsForWavesPerEU: 24
; NumVGPRsForWavesPerEU: 15
; Occupancy: 16
; WaveLimiterHint : 1
; COMPUTE_PGM_RSRC2:SCRATCH_EN: 0
; COMPUTE_PGM_RSRC2:USER_SGPR: 15
; COMPUTE_PGM_RSRC2:TRAP_HANDLER: 0
; COMPUTE_PGM_RSRC2:TGID_X_EN: 1
; COMPUTE_PGM_RSRC2:TGID_Y_EN: 0
; COMPUTE_PGM_RSRC2:TGID_Z_EN: 0
; COMPUTE_PGM_RSRC2:TIDIG_COMP_CNT: 0
	.section	.text._ZN9rocsparseL27csrsv_analysis_upper_kernelILj1024ELj64ELb0EilEEvT3_PKT2_PKS1_PS2_PiS7_PS1_21rocsparse_index_base_20rocsparse_diag_type_,"axG",@progbits,_ZN9rocsparseL27csrsv_analysis_upper_kernelILj1024ELj64ELb0EilEEvT3_PKT2_PKS1_PS2_PiS7_PS1_21rocsparse_index_base_20rocsparse_diag_type_,comdat
	.globl	_ZN9rocsparseL27csrsv_analysis_upper_kernelILj1024ELj64ELb0EilEEvT3_PKT2_PKS1_PS2_PiS7_PS1_21rocsparse_index_base_20rocsparse_diag_type_ ; -- Begin function _ZN9rocsparseL27csrsv_analysis_upper_kernelILj1024ELj64ELb0EilEEvT3_PKT2_PKS1_PS2_PiS7_PS1_21rocsparse_index_base_20rocsparse_diag_type_
	.p2align	8
	.type	_ZN9rocsparseL27csrsv_analysis_upper_kernelILj1024ELj64ELb0EilEEvT3_PKT2_PKS1_PS2_PiS7_PS1_21rocsparse_index_base_20rocsparse_diag_type_,@function
_ZN9rocsparseL27csrsv_analysis_upper_kernelILj1024ELj64ELb0EilEEvT3_PKT2_PKS1_PS2_PiS7_PS1_21rocsparse_index_base_20rocsparse_diag_type_: ; @_ZN9rocsparseL27csrsv_analysis_upper_kernelILj1024ELj64ELb0EilEEvT3_PKT2_PKS1_PS2_PiS7_PS1_21rocsparse_index_base_20rocsparse_diag_type_
; %bb.0:
	s_load_b64 s[2:3], s[0:1], 0x0
	s_mov_b32 s5, 0
	s_lshl_b32 s4, s15, 4
	v_lshrrev_b32_e32 v3, 6, v0
	s_not_b64 s[4:5], s[4:5]
	s_delay_alu instid0(VALU_DEP_1)
	v_lshlrev_b32_e32 v10, 2, v3
	s_waitcnt lgkmcnt(0)
	s_add_u32 s12, s4, s2
	s_addc_u32 s13, s5, s3
	v_sub_co_u32 v1, s2, s12, v3
	v_mov_b32_e32 v3, 0
	v_sub_co_ci_u32_e64 v2, null, s13, 0, s2
	s_mov_b32 s2, exec_lo
	ds_store_b32 v10, v3
	s_waitcnt lgkmcnt(0)
	s_barrier
	buffer_gl0_inv
	v_cmpx_lt_i64_e32 -1, v[1:2]
	s_cbranch_execz .LBB22_32
; %bb.1:
	s_clause 0x1
	s_load_b64 s[2:3], s[0:1], 0x8
	s_load_b128 s[8:11], s[0:1], 0x18
	v_lshlrev_b64 v[3:4], 2, v[1:2]
	v_and_b32_e32 v0, 63, v0
	s_mov_b32 s4, exec_lo
	s_delay_alu instid0(VALU_DEP_1)
	v_cmpx_eq_u32_e32 0, v0
	s_cbranch_execz .LBB22_3
; %bb.2:
	s_waitcnt lgkmcnt(0)
	v_add_co_u32 v5, vcc_lo, s8, v3
	v_add_co_ci_u32_e32 v6, vcc_lo, s9, v4, vcc_lo
	v_mov_b32_e32 v7, -1
	global_store_b32 v[5:6], v7, off
.LBB22_3:
	s_or_b32 exec_lo, exec_lo, s4
	s_waitcnt lgkmcnt(0)
	v_add_co_u32 v5, vcc_lo, s2, v3
	v_add_co_ci_u32_e32 v6, vcc_lo, s3, v4, vcc_lo
	s_mov_b32 s15, -1
	s_mov_b32 s14, exec_lo
	v_mov_b32_e32 v13, 0
	global_load_b64 v[5:6], v[5:6], off
	s_clause 0x1
	s_load_b64 s[2:3], s[0:1], 0x38
	s_load_b128 s[4:7], s[0:1], 0x28
	s_waitcnt vmcnt(0) lgkmcnt(0)
	v_subrev_nc_u32_e32 v11, s2, v6
	v_mov_b32_e32 v6, -1
	v_subrev_nc_u32_e32 v12, s2, v5
	v_mov_b32_e32 v7, -1
	s_delay_alu instid0(VALU_DEP_4) | instskip(NEXT) | instid1(VALU_DEP_1)
	v_xad_u32 v5, v0, -1, v11
	v_cmpx_ge_i32_e64 v5, v12
	s_cbranch_execz .LBB22_13
; %bb.4:
	s_load_b64 s[0:1], s[0:1], 0x10
	v_mov_b32_e32 v13, 0
	s_mov_b32 s15, 0
                                        ; implicit-def: $sgpr16
                                        ; implicit-def: $sgpr18
                                        ; implicit-def: $sgpr17
	s_branch .LBB22_7
.LBB22_5:                               ;   in Loop: Header=BB22_7 Depth=1
	s_or_b32 exec_lo, exec_lo, s20
	v_subrev_nc_u32_e32 v5, 64, v5
	v_max_i32_e32 v13, v14, v13
	s_and_not1_b32 s18, s18, exec_lo
	s_or_b32 s17, s17, exec_lo
	s_delay_alu instid0(VALU_DEP_2) | instskip(SKIP_1) | instid1(SALU_CYCLE_1)
	v_cmp_lt_i32_e32 vcc_lo, v5, v12
	s_and_b32 s20, vcc_lo, exec_lo
	s_or_b32 s18, s18, s20
.LBB22_6:                               ;   in Loop: Header=BB22_7 Depth=1
	s_or_b32 exec_lo, exec_lo, s19
	s_delay_alu instid0(SALU_CYCLE_1) | instskip(NEXT) | instid1(SALU_CYCLE_1)
	s_and_b32 s19, exec_lo, s18
	s_or_b32 s15, s19, s15
	s_and_not1_b32 s16, s16, exec_lo
	s_and_b32 s19, s17, exec_lo
	s_delay_alu instid0(SALU_CYCLE_1)
	s_or_b32 s16, s16, s19
	s_and_not1_b32 exec_lo, exec_lo, s15
	s_cbranch_execz .LBB22_12
.LBB22_7:                               ; =>This Loop Header: Depth=1
                                        ;     Child Loop BB22_10 Depth 2
	v_ashrrev_i32_e32 v6, 31, v5
	s_and_not1_b32 s17, s17, exec_lo
	s_or_b32 s18, s18, exec_lo
	s_mov_b32 s19, exec_lo
	s_delay_alu instid0(VALU_DEP_1) | instskip(SKIP_1) | instid1(VALU_DEP_1)
	v_lshlrev_b64 v[6:7], 3, v[5:6]
	s_waitcnt lgkmcnt(0)
	v_add_co_u32 v6, vcc_lo, s0, v6
	s_delay_alu instid0(VALU_DEP_2) | instskip(SKIP_4) | instid1(VALU_DEP_1)
	v_add_co_ci_u32_e32 v7, vcc_lo, s1, v7, vcc_lo
	global_load_b64 v[6:7], v[6:7], off slc dlc
	s_waitcnt vmcnt(0)
	v_sub_co_u32 v6, vcc_lo, v6, s2
	v_subrev_co_ci_u32_e32 v7, vcc_lo, 0, v7, vcc_lo
	v_cmpx_lt_i64_e64 s[12:13], v[6:7]
	s_cbranch_execz .LBB22_6
; %bb.8:                                ;   in Loop: Header=BB22_7 Depth=1
	v_lshlrev_b64 v[8:9], 2, v[6:7]
	s_mov_b32 s20, exec_lo
	s_delay_alu instid0(VALU_DEP_1) | instskip(NEXT) | instid1(VALU_DEP_2)
	v_add_co_u32 v8, vcc_lo, s10, v8
	v_add_co_ci_u32_e32 v9, vcc_lo, s11, v9, vcc_lo
	global_load_b32 v14, v[8:9], off glc
	s_waitcnt vmcnt(0)
	v_cmpx_eq_u32_e32 0, v14
	s_cbranch_execz .LBB22_5
; %bb.9:                                ;   in Loop: Header=BB22_7 Depth=1
	s_mov_b32 s21, 0
.LBB22_10:                              ;   Parent Loop BB22_7 Depth=1
                                        ; =>  This Inner Loop Header: Depth=2
	global_load_b32 v14, v[8:9], off glc
	s_waitcnt vmcnt(0)
	v_cmp_ne_u32_e32 vcc_lo, 0, v14
	s_or_b32 s21, vcc_lo, s21
	s_delay_alu instid0(SALU_CYCLE_1)
	s_and_not1_b32 exec_lo, exec_lo, s21
	s_cbranch_execnz .LBB22_10
; %bb.11:                               ;   in Loop: Header=BB22_7 Depth=1
	s_or_b32 exec_lo, exec_lo, s21
	s_branch .LBB22_5
.LBB22_12:
	s_or_b32 exec_lo, exec_lo, s15
	s_delay_alu instid0(SALU_CYCLE_1)
	s_or_not1_b32 s15, s16, exec_lo
.LBB22_13:
	s_or_b32 exec_lo, exec_lo, s14
	s_xor_b32 s1, s15, -1
	s_delay_alu instid0(SALU_CYCLE_1)
	s_and_saveexec_b32 s0, s1
	s_cbranch_execz .LBB22_22
; %bb.14:
	s_mov_b32 s1, exec_lo
	v_cmpx_eq_u64_e64 v[6:7], v[1:2]
	s_cbranch_execz .LBB22_16
; %bb.15:
	v_add_co_u32 v8, vcc_lo, s8, v3
	v_add_co_ci_u32_e32 v9, vcc_lo, s9, v4, vcc_lo
	global_store_b32 v[8:9], v5, off
.LBB22_16:
	s_or_b32 exec_lo, exec_lo, s1
	s_delay_alu instid0(SALU_CYCLE_1)
	s_mov_b32 s1, exec_lo
	v_cmpx_gt_i64_e64 v[6:7], v[1:2]
	s_cbranch_execz .LBB22_21
; %bb.17:
	v_sub_nc_u32_e32 v5, s12, v6
	s_mov_b32 s13, 0
	s_mov_b32 s12, exec_lo
	s_delay_alu instid0(VALU_DEP_1)
	v_lshlrev_b32_e32 v6, 2, v5
	ds_load_b32 v5, v6
	s_waitcnt lgkmcnt(0)
	v_cmpx_eq_u32_e32 0, v5
	s_cbranch_execz .LBB22_20
.LBB22_18:                              ; =>This Inner Loop Header: Depth=1
	ds_load_b32 v5, v6
	s_waitcnt lgkmcnt(0)
	v_cmp_ne_u32_e32 vcc_lo, 0, v5
	s_or_b32 s13, vcc_lo, s13
	s_delay_alu instid0(SALU_CYCLE_1)
	s_and_not1_b32 exec_lo, exec_lo, s13
	s_cbranch_execnz .LBB22_18
; %bb.19:
	s_or_b32 exec_lo, exec_lo, s13
.LBB22_20:
	s_delay_alu instid0(SALU_CYCLE_1)
	s_or_b32 exec_lo, exec_lo, s12
	v_max_i32_e32 v13, v5, v13
.LBB22_21:
	s_or_b32 exec_lo, exec_lo, s1
.LBB22_22:
	s_delay_alu instid0(SALU_CYCLE_1)
	s_or_b32 exec_lo, exec_lo, s0
	v_mbcnt_lo_u32_b32 v5, -1, 0
	s_waitcnt_vscnt null, 0x0
	buffer_gl0_inv
	v_or_b32_e32 v6, 32, v5
	v_xor_b32_e32 v7, 16, v5
	v_xor_b32_e32 v8, 8, v5
	s_delay_alu instid0(VALU_DEP_3) | instskip(SKIP_1) | instid1(VALU_DEP_4)
	v_cmp_gt_i32_e32 vcc_lo, 32, v6
	v_cndmask_b32_e32 v6, v5, v6, vcc_lo
	v_cmp_gt_i32_e32 vcc_lo, 32, v7
	v_cndmask_b32_e32 v7, v5, v7, vcc_lo
	v_cmp_gt_i32_e32 vcc_lo, 32, v8
	v_cndmask_b32_e32 v8, v5, v8, vcc_lo
	s_delay_alu instid0(VALU_DEP_1) | instskip(NEXT) | instid1(VALU_DEP_4)
	v_lshlrev_b32_e32 v8, 2, v8
	v_lshlrev_b32_e32 v7, 2, v7
	;; [unrolled: 1-line block ×3, first 2 shown]
	ds_bpermute_b32 v6, v6, v13
	s_waitcnt lgkmcnt(0)
	v_max_i32_e32 v6, v13, v6
	ds_bpermute_b32 v7, v7, v6
	s_waitcnt lgkmcnt(0)
	v_max_i32_e32 v6, v6, v7
	ds_bpermute_b32 v7, v8, v6
	v_xor_b32_e32 v8, 4, v5
	s_delay_alu instid0(VALU_DEP_1) | instskip(SKIP_1) | instid1(VALU_DEP_1)
	v_cmp_gt_i32_e32 vcc_lo, 32, v8
	v_cndmask_b32_e32 v8, v5, v8, vcc_lo
	v_lshlrev_b32_e32 v8, 2, v8
	s_waitcnt lgkmcnt(0)
	v_max_i32_e32 v6, v6, v7
	ds_bpermute_b32 v7, v8, v6
	v_xor_b32_e32 v8, 2, v5
	s_delay_alu instid0(VALU_DEP_1) | instskip(SKIP_1) | instid1(VALU_DEP_1)
	v_cmp_gt_i32_e32 vcc_lo, 32, v8
	v_cndmask_b32_e32 v8, v5, v8, vcc_lo
	v_lshlrev_b32_e32 v8, 2, v8
	s_waitcnt lgkmcnt(0)
	v_max_i32_e32 v6, v6, v7
	ds_bpermute_b32 v7, v8, v6
	v_xor_b32_e32 v8, 1, v5
	s_delay_alu instid0(VALU_DEP_1) | instskip(SKIP_4) | instid1(VALU_DEP_3)
	v_cmp_gt_i32_e32 vcc_lo, 32, v8
	v_cndmask_b32_e32 v8, v5, v8, vcc_lo
	v_cmp_eq_u32_e32 vcc_lo, 63, v0
	s_waitcnt lgkmcnt(0)
	v_max_i32_e32 v5, v6, v7
	v_lshlrev_b32_e32 v6, 2, v8
	ds_bpermute_b32 v6, v6, v5
	s_and_b32 exec_lo, exec_lo, vcc_lo
	s_cbranch_execz .LBB22_32
; %bb.23:
	s_waitcnt lgkmcnt(0)
	v_max_i32_e32 v0, v5, v6
	v_add_co_u32 v5, vcc_lo, s10, v3
	v_add_co_ci_u32_e32 v6, vcc_lo, s11, v4, vcc_lo
	s_delay_alu instid0(VALU_DEP_3)
	v_add_nc_u32_e32 v7, 1, v0
	v_sub_nc_u32_e32 v0, v11, v12
	s_mov_b32 s1, exec_lo
	s_brev_b32 s0, 1
	ds_store_b32 v10, v7
	global_store_b32 v[5:6], v7, off
.LBB22_24:                              ; =>This Inner Loop Header: Depth=1
	s_ctz_i32_b32 s10, s1
	s_delay_alu instid0(SALU_CYCLE_1) | instskip(SKIP_1) | instid1(SALU_CYCLE_1)
	v_readlane_b32 s11, v0, s10
	s_lshl_b32 s10, 1, s10
	s_and_not1_b32 s1, s1, s10
	s_delay_alu instid0(VALU_DEP_1)
	s_max_i32 s0, s0, s11
	s_cmp_lg_u32 s1, 0
	s_cbranch_scc1 .LBB22_24
; %bb.25:
	v_mbcnt_lo_u32_b32 v0, exec_lo, 0
	s_mov_b32 s1, exec_lo
	s_delay_alu instid0(VALU_DEP_1)
	v_cmpx_eq_u32_e32 0, v0
	s_xor_b32 s1, exec_lo, s1
	s_cbranch_execz .LBB22_27
; %bb.26:
	v_dual_mov_b32 v0, 0 :: v_dual_mov_b32 v5, s0
	global_atomic_max_i32 v0, v5, s[4:5]
.LBB22_27:
	s_or_b32 exec_lo, exec_lo, s1
	v_add_co_u32 v3, vcc_lo, s8, v3
	v_add_co_ci_u32_e32 v4, vcc_lo, s9, v4, vcc_lo
	s_cmp_eq_u32 s3, 0
	s_cselect_b32 s0, -1, 0
	global_load_b32 v0, v[3:4], off
	s_waitcnt vmcnt(0)
	v_cmp_eq_u32_e32 vcc_lo, -1, v0
	s_and_b32 s0, s0, vcc_lo
	s_delay_alu instid0(SALU_CYCLE_1)
	s_and_b32 exec_lo, exec_lo, s0
	s_cbranch_execz .LBB22_32
; %bb.28:
	v_add_co_u32 v0, vcc_lo, v1, s2
	v_add_co_ci_u32_e32 v1, vcc_lo, 0, v2, vcc_lo
	s_mov_b32 s3, exec_lo
	s_mov_b64 s[0:1], -1
.LBB22_29:                              ; =>This Inner Loop Header: Depth=1
	s_ctz_i32_b32 s2, s3
	s_delay_alu instid0(VALU_DEP_1) | instid1(SALU_CYCLE_1)
	v_readlane_b32 s5, v1, s2
	v_readlane_b32 s4, v0, s2
	s_delay_alu instid0(VALU_DEP_1) | instskip(NEXT) | instid1(VALU_DEP_1)
	v_cmp_lt_u64_e64 s8, s[0:1], s[4:5]
	s_and_b32 s8, s8, exec_lo
	s_cselect_b32 s1, s1, s5
	s_cselect_b32 s0, s0, s4
	s_lshl_b32 s2, 1, s2
	s_delay_alu instid0(SALU_CYCLE_1) | instskip(NEXT) | instid1(SALU_CYCLE_1)
	s_and_not1_b32 s3, s3, s2
	s_cmp_lg_u32 s3, 0
	s_cbranch_scc1 .LBB22_29
; %bb.30:
	v_mbcnt_lo_u32_b32 v0, exec_lo, 0
	s_mov_b32 s2, exec_lo
	s_delay_alu instid0(VALU_DEP_1)
	v_cmpx_eq_u32_e32 0, v0
	s_xor_b32 s2, exec_lo, s2
	s_cbranch_execz .LBB22_32
; %bb.31:
	v_mov_b32_e32 v0, s0
	v_dual_mov_b32 v2, 0 :: v_dual_mov_b32 v1, s1
	global_atomic_min_u64 v2, v[0:1], s[6:7]
.LBB22_32:
	s_nop 0
	s_sendmsg sendmsg(MSG_DEALLOC_VGPRS)
	s_endpgm
	.section	.rodata,"a",@progbits
	.p2align	6, 0x0
	.amdhsa_kernel _ZN9rocsparseL27csrsv_analysis_upper_kernelILj1024ELj64ELb0EilEEvT3_PKT2_PKS1_PS2_PiS7_PS1_21rocsparse_index_base_20rocsparse_diag_type_
		.amdhsa_group_segment_fixed_size 64
		.amdhsa_private_segment_fixed_size 0
		.amdhsa_kernarg_size 64
		.amdhsa_user_sgpr_count 15
		.amdhsa_user_sgpr_dispatch_ptr 0
		.amdhsa_user_sgpr_queue_ptr 0
		.amdhsa_user_sgpr_kernarg_segment_ptr 1
		.amdhsa_user_sgpr_dispatch_id 0
		.amdhsa_user_sgpr_private_segment_size 0
		.amdhsa_wavefront_size32 1
		.amdhsa_uses_dynamic_stack 0
		.amdhsa_enable_private_segment 0
		.amdhsa_system_sgpr_workgroup_id_x 1
		.amdhsa_system_sgpr_workgroup_id_y 0
		.amdhsa_system_sgpr_workgroup_id_z 0
		.amdhsa_system_sgpr_workgroup_info 0
		.amdhsa_system_vgpr_workitem_id 0
		.amdhsa_next_free_vgpr 15
		.amdhsa_next_free_sgpr 22
		.amdhsa_reserve_vcc 1
		.amdhsa_float_round_mode_32 0
		.amdhsa_float_round_mode_16_64 0
		.amdhsa_float_denorm_mode_32 3
		.amdhsa_float_denorm_mode_16_64 3
		.amdhsa_dx10_clamp 1
		.amdhsa_ieee_mode 1
		.amdhsa_fp16_overflow 0
		.amdhsa_workgroup_processor_mode 1
		.amdhsa_memory_ordered 1
		.amdhsa_forward_progress 0
		.amdhsa_shared_vgpr_count 0
		.amdhsa_exception_fp_ieee_invalid_op 0
		.amdhsa_exception_fp_denorm_src 0
		.amdhsa_exception_fp_ieee_div_zero 0
		.amdhsa_exception_fp_ieee_overflow 0
		.amdhsa_exception_fp_ieee_underflow 0
		.amdhsa_exception_fp_ieee_inexact 0
		.amdhsa_exception_int_div_zero 0
	.end_amdhsa_kernel
	.section	.text._ZN9rocsparseL27csrsv_analysis_upper_kernelILj1024ELj64ELb0EilEEvT3_PKT2_PKS1_PS2_PiS7_PS1_21rocsparse_index_base_20rocsparse_diag_type_,"axG",@progbits,_ZN9rocsparseL27csrsv_analysis_upper_kernelILj1024ELj64ELb0EilEEvT3_PKT2_PKS1_PS2_PiS7_PS1_21rocsparse_index_base_20rocsparse_diag_type_,comdat
.Lfunc_end22:
	.size	_ZN9rocsparseL27csrsv_analysis_upper_kernelILj1024ELj64ELb0EilEEvT3_PKT2_PKS1_PS2_PiS7_PS1_21rocsparse_index_base_20rocsparse_diag_type_, .Lfunc_end22-_ZN9rocsparseL27csrsv_analysis_upper_kernelILj1024ELj64ELb0EilEEvT3_PKT2_PKS1_PS2_PiS7_PS1_21rocsparse_index_base_20rocsparse_diag_type_
                                        ; -- End function
	.section	.AMDGPU.csdata,"",@progbits
; Kernel info:
; codeLenInByte = 1324
; NumSgprs: 24
; NumVgprs: 15
; ScratchSize: 0
; MemoryBound: 0
; FloatMode: 240
; IeeeMode: 1
; LDSByteSize: 64 bytes/workgroup (compile time only)
; SGPRBlocks: 2
; VGPRBlocks: 1
; NumSGPRsForWavesPerEU: 24
; NumVGPRsForWavesPerEU: 15
; Occupancy: 16
; WaveLimiterHint : 1
; COMPUTE_PGM_RSRC2:SCRATCH_EN: 0
; COMPUTE_PGM_RSRC2:USER_SGPR: 15
; COMPUTE_PGM_RSRC2:TRAP_HANDLER: 0
; COMPUTE_PGM_RSRC2:TGID_X_EN: 1
; COMPUTE_PGM_RSRC2:TGID_Y_EN: 0
; COMPUTE_PGM_RSRC2:TGID_Z_EN: 0
; COMPUTE_PGM_RSRC2:TIDIG_COMP_CNT: 0
	.section	.text._ZN9rocsparseL27csrsv_analysis_lower_kernelILj1024ELj64ELb0EilEEvT3_PKT2_PKS1_PS2_PiS7_PS1_21rocsparse_index_base_20rocsparse_diag_type_,"axG",@progbits,_ZN9rocsparseL27csrsv_analysis_lower_kernelILj1024ELj64ELb0EilEEvT3_PKT2_PKS1_PS2_PiS7_PS1_21rocsparse_index_base_20rocsparse_diag_type_,comdat
	.globl	_ZN9rocsparseL27csrsv_analysis_lower_kernelILj1024ELj64ELb0EilEEvT3_PKT2_PKS1_PS2_PiS7_PS1_21rocsparse_index_base_20rocsparse_diag_type_ ; -- Begin function _ZN9rocsparseL27csrsv_analysis_lower_kernelILj1024ELj64ELb0EilEEvT3_PKT2_PKS1_PS2_PiS7_PS1_21rocsparse_index_base_20rocsparse_diag_type_
	.p2align	8
	.type	_ZN9rocsparseL27csrsv_analysis_lower_kernelILj1024ELj64ELb0EilEEvT3_PKT2_PKS1_PS2_PiS7_PS1_21rocsparse_index_base_20rocsparse_diag_type_,@function
_ZN9rocsparseL27csrsv_analysis_lower_kernelILj1024ELj64ELb0EilEEvT3_PKT2_PKS1_PS2_PiS7_PS1_21rocsparse_index_base_20rocsparse_diag_type_: ; @_ZN9rocsparseL27csrsv_analysis_lower_kernelILj1024ELj64ELb0EilEEvT3_PKT2_PKS1_PS2_PiS7_PS1_21rocsparse_index_base_20rocsparse_diag_type_
; %bb.0:
	s_load_b64 s[2:3], s[0:1], 0x0
	v_lshrrev_b32_e32 v3, 6, v0
	s_lshl_b32 s12, s15, 4
	v_mov_b32_e32 v2, 0
	s_delay_alu instid0(VALU_DEP_2)
	v_or_b32_e32 v1, s12, v3
	v_lshlrev_b32_e32 v10, 2, v3
	ds_store_b32 v10, v2
	s_waitcnt lgkmcnt(0)
	s_barrier
	buffer_gl0_inv
	v_cmp_gt_i64_e32 vcc_lo, s[2:3], v[1:2]
	s_and_saveexec_b32 s2, vcc_lo
	s_cbranch_execz .LBB23_32
; %bb.1:
	s_clause 0x1
	s_load_b64 s[2:3], s[0:1], 0x8
	s_load_b128 s[8:11], s[0:1], 0x18
	v_lshlrev_b64 v[3:4], 2, v[1:2]
	v_and_b32_e32 v0, 63, v0
	s_mov_b32 s13, 0
	s_mov_b32 s4, exec_lo
	s_delay_alu instid0(VALU_DEP_1)
	v_cmpx_eq_u32_e32 0, v0
	s_cbranch_execz .LBB23_3
; %bb.2:
	s_waitcnt lgkmcnt(0)
	v_add_co_u32 v5, vcc_lo, s8, v3
	v_add_co_ci_u32_e32 v6, vcc_lo, s9, v4, vcc_lo
	v_mov_b32_e32 v7, -1
	global_store_b32 v[5:6], v7, off
.LBB23_3:
	s_or_b32 exec_lo, exec_lo, s4
	s_waitcnt lgkmcnt(0)
	v_add_co_u32 v5, vcc_lo, s2, v3
	v_add_co_ci_u32_e32 v6, vcc_lo, s3, v4, vcc_lo
	v_mov_b32_e32 v13, 0
	s_mov_b32 s14, exec_lo
	global_load_b64 v[5:6], v[5:6], off
	s_clause 0x1
	s_load_b64 s[2:3], s[0:1], 0x38
	s_load_b128 s[4:7], s[0:1], 0x28
	s_waitcnt vmcnt(0) lgkmcnt(0)
	v_subrev_nc_u32_e32 v11, s2, v5
	v_subrev_nc_u32_e32 v12, s2, v6
	v_mov_b32_e32 v6, -1
	v_mov_b32_e32 v7, -1
	s_delay_alu instid0(VALU_DEP_4) | instskip(NEXT) | instid1(VALU_DEP_1)
	v_add_nc_u32_e32 v5, v11, v0
	v_cmpx_lt_i32_e64 v5, v12
	s_cbranch_execz .LBB23_13
; %bb.4:
	s_load_b64 s[0:1], s[0:1], 0x10
	v_mov_b32_e32 v13, 0
	s_mov_b32 s15, 0
                                        ; implicit-def: $sgpr16
                                        ; implicit-def: $sgpr18
                                        ; implicit-def: $sgpr17
	s_branch .LBB23_7
.LBB23_5:                               ;   in Loop: Header=BB23_7 Depth=1
	s_or_b32 exec_lo, exec_lo, s20
	v_add_nc_u32_e32 v5, 64, v5
	v_max_i32_e32 v13, v14, v13
	s_and_not1_b32 s18, s18, exec_lo
	s_and_not1_b32 s17, s17, exec_lo
	s_delay_alu instid0(VALU_DEP_2) | instskip(SKIP_1) | instid1(SALU_CYCLE_1)
	v_cmp_ge_i32_e32 vcc_lo, v5, v12
	s_and_b32 s20, vcc_lo, exec_lo
	s_or_b32 s18, s18, s20
.LBB23_6:                               ;   in Loop: Header=BB23_7 Depth=1
	s_or_b32 exec_lo, exec_lo, s19
	s_delay_alu instid0(SALU_CYCLE_1) | instskip(NEXT) | instid1(SALU_CYCLE_1)
	s_and_b32 s19, exec_lo, s18
	s_or_b32 s15, s19, s15
	s_and_not1_b32 s16, s16, exec_lo
	s_and_b32 s19, s17, exec_lo
	s_delay_alu instid0(SALU_CYCLE_1)
	s_or_b32 s16, s16, s19
	s_and_not1_b32 exec_lo, exec_lo, s15
	s_cbranch_execz .LBB23_12
.LBB23_7:                               ; =>This Loop Header: Depth=1
                                        ;     Child Loop BB23_10 Depth 2
	v_ashrrev_i32_e32 v6, 31, v5
	s_or_b32 s17, s17, exec_lo
	s_or_b32 s18, s18, exec_lo
	s_mov_b32 s19, exec_lo
	s_delay_alu instid0(VALU_DEP_1) | instskip(SKIP_1) | instid1(VALU_DEP_1)
	v_lshlrev_b64 v[6:7], 3, v[5:6]
	s_waitcnt lgkmcnt(0)
	v_add_co_u32 v6, vcc_lo, s0, v6
	s_delay_alu instid0(VALU_DEP_2) | instskip(SKIP_4) | instid1(VALU_DEP_1)
	v_add_co_ci_u32_e32 v7, vcc_lo, s1, v7, vcc_lo
	global_load_b64 v[6:7], v[6:7], off slc dlc
	s_waitcnt vmcnt(0)
	v_sub_co_u32 v6, vcc_lo, v6, s2
	v_subrev_co_ci_u32_e32 v7, vcc_lo, 0, v7, vcc_lo
	v_cmpx_gt_i64_e64 s[12:13], v[6:7]
	s_cbranch_execz .LBB23_6
; %bb.8:                                ;   in Loop: Header=BB23_7 Depth=1
	v_lshlrev_b64 v[8:9], 2, v[6:7]
	s_mov_b32 s20, exec_lo
	s_delay_alu instid0(VALU_DEP_1) | instskip(NEXT) | instid1(VALU_DEP_2)
	v_add_co_u32 v8, vcc_lo, s10, v8
	v_add_co_ci_u32_e32 v9, vcc_lo, s11, v9, vcc_lo
	global_load_b32 v14, v[8:9], off glc
	s_waitcnt vmcnt(0)
	v_cmpx_eq_u32_e32 0, v14
	s_cbranch_execz .LBB23_5
; %bb.9:                                ;   in Loop: Header=BB23_7 Depth=1
	s_mov_b32 s21, 0
.LBB23_10:                              ;   Parent Loop BB23_7 Depth=1
                                        ; =>  This Inner Loop Header: Depth=2
	global_load_b32 v14, v[8:9], off glc
	s_waitcnt vmcnt(0)
	v_cmp_ne_u32_e32 vcc_lo, 0, v14
	s_or_b32 s21, vcc_lo, s21
	s_delay_alu instid0(SALU_CYCLE_1)
	s_and_not1_b32 exec_lo, exec_lo, s21
	s_cbranch_execnz .LBB23_10
; %bb.11:                               ;   in Loop: Header=BB23_7 Depth=1
	s_or_b32 exec_lo, exec_lo, s21
	s_branch .LBB23_5
.LBB23_12:
	s_or_b32 exec_lo, exec_lo, s15
	s_delay_alu instid0(SALU_CYCLE_1)
	s_and_b32 s13, s16, exec_lo
.LBB23_13:
	s_or_b32 exec_lo, exec_lo, s14
	s_and_saveexec_b32 s0, s13
	s_cbranch_execz .LBB23_22
; %bb.14:
	s_mov_b32 s1, exec_lo
	v_cmpx_eq_u64_e64 v[6:7], v[1:2]
	s_cbranch_execz .LBB23_16
; %bb.15:
	v_add_co_u32 v8, vcc_lo, s8, v3
	v_add_co_ci_u32_e32 v9, vcc_lo, s9, v4, vcc_lo
	global_store_b32 v[8:9], v5, off
.LBB23_16:
	s_or_b32 exec_lo, exec_lo, s1
	s_delay_alu instid0(SALU_CYCLE_1)
	s_mov_b32 s1, exec_lo
	v_cmpx_lt_i64_e64 v[6:7], v[1:2]
	s_cbranch_execz .LBB23_21
; %bb.17:
	v_subrev_nc_u32_e32 v2, s12, v6
	s_mov_b32 s13, 0
	s_mov_b32 s12, exec_lo
	s_delay_alu instid0(VALU_DEP_1)
	v_lshlrev_b32_e32 v5, 2, v2
	ds_load_b32 v2, v5
	s_waitcnt lgkmcnt(0)
	v_cmpx_eq_u32_e32 0, v2
	s_cbranch_execz .LBB23_20
.LBB23_18:                              ; =>This Inner Loop Header: Depth=1
	ds_load_b32 v2, v5
	s_waitcnt lgkmcnt(0)
	v_cmp_ne_u32_e32 vcc_lo, 0, v2
	s_or_b32 s13, vcc_lo, s13
	s_delay_alu instid0(SALU_CYCLE_1)
	s_and_not1_b32 exec_lo, exec_lo, s13
	s_cbranch_execnz .LBB23_18
; %bb.19:
	s_or_b32 exec_lo, exec_lo, s13
.LBB23_20:
	s_delay_alu instid0(SALU_CYCLE_1)
	s_or_b32 exec_lo, exec_lo, s12
	v_max_i32_e32 v13, v2, v13
.LBB23_21:
	s_or_b32 exec_lo, exec_lo, s1
.LBB23_22:
	s_delay_alu instid0(SALU_CYCLE_1)
	s_or_b32 exec_lo, exec_lo, s0
	v_mbcnt_lo_u32_b32 v2, -1, 0
	s_waitcnt_vscnt null, 0x0
	buffer_gl0_inv
	v_or_b32_e32 v5, 32, v2
	v_xor_b32_e32 v6, 16, v2
	v_xor_b32_e32 v7, 8, v2
	s_delay_alu instid0(VALU_DEP_3) | instskip(SKIP_1) | instid1(VALU_DEP_4)
	v_cmp_gt_i32_e32 vcc_lo, 32, v5
	v_cndmask_b32_e32 v5, v2, v5, vcc_lo
	v_cmp_gt_i32_e32 vcc_lo, 32, v6
	v_cndmask_b32_e32 v6, v2, v6, vcc_lo
	v_cmp_gt_i32_e32 vcc_lo, 32, v7
	v_cndmask_b32_e32 v7, v2, v7, vcc_lo
	s_delay_alu instid0(VALU_DEP_1) | instskip(NEXT) | instid1(VALU_DEP_4)
	v_lshlrev_b32_e32 v7, 2, v7
	v_lshlrev_b32_e32 v6, 2, v6
	;; [unrolled: 1-line block ×3, first 2 shown]
	ds_bpermute_b32 v5, v5, v13
	s_waitcnt lgkmcnt(0)
	v_max_i32_e32 v5, v13, v5
	ds_bpermute_b32 v6, v6, v5
	s_waitcnt lgkmcnt(0)
	v_max_i32_e32 v5, v5, v6
	ds_bpermute_b32 v6, v7, v5
	v_xor_b32_e32 v7, 4, v2
	s_delay_alu instid0(VALU_DEP_1) | instskip(SKIP_1) | instid1(VALU_DEP_1)
	v_cmp_gt_i32_e32 vcc_lo, 32, v7
	v_cndmask_b32_e32 v7, v2, v7, vcc_lo
	v_lshlrev_b32_e32 v7, 2, v7
	s_waitcnt lgkmcnt(0)
	v_max_i32_e32 v5, v5, v6
	ds_bpermute_b32 v6, v7, v5
	v_xor_b32_e32 v7, 2, v2
	s_delay_alu instid0(VALU_DEP_1) | instskip(SKIP_1) | instid1(VALU_DEP_1)
	v_cmp_gt_i32_e32 vcc_lo, 32, v7
	v_cndmask_b32_e32 v7, v2, v7, vcc_lo
	v_lshlrev_b32_e32 v7, 2, v7
	s_waitcnt lgkmcnt(0)
	v_max_i32_e32 v5, v5, v6
	ds_bpermute_b32 v6, v7, v5
	v_xor_b32_e32 v7, 1, v2
	s_delay_alu instid0(VALU_DEP_1) | instskip(SKIP_4) | instid1(VALU_DEP_3)
	v_cmp_gt_i32_e32 vcc_lo, 32, v7
	v_cndmask_b32_e32 v7, v2, v7, vcc_lo
	v_cmp_eq_u32_e32 vcc_lo, 63, v0
	s_waitcnt lgkmcnt(0)
	v_max_i32_e32 v2, v5, v6
	v_lshlrev_b32_e32 v5, 2, v7
	ds_bpermute_b32 v5, v5, v2
	s_and_b32 exec_lo, exec_lo, vcc_lo
	s_cbranch_execz .LBB23_32
; %bb.23:
	s_waitcnt lgkmcnt(0)
	v_max_i32_e32 v0, v2, v5
	v_add_co_u32 v5, vcc_lo, s10, v3
	v_add_co_ci_u32_e32 v6, vcc_lo, s11, v4, vcc_lo
	s_delay_alu instid0(VALU_DEP_3)
	v_add_nc_u32_e32 v2, 1, v0
	v_sub_nc_u32_e32 v0, v12, v11
	s_mov_b32 s1, exec_lo
	s_brev_b32 s0, 1
	ds_store_b32 v10, v2
	global_store_b32 v[5:6], v2, off
.LBB23_24:                              ; =>This Inner Loop Header: Depth=1
	s_ctz_i32_b32 s10, s1
	s_delay_alu instid0(SALU_CYCLE_1) | instskip(SKIP_1) | instid1(SALU_CYCLE_1)
	v_readlane_b32 s11, v0, s10
	s_lshl_b32 s10, 1, s10
	s_and_not1_b32 s1, s1, s10
	s_delay_alu instid0(VALU_DEP_1)
	s_max_i32 s0, s0, s11
	s_cmp_lg_u32 s1, 0
	s_cbranch_scc1 .LBB23_24
; %bb.25:
	v_mbcnt_lo_u32_b32 v0, exec_lo, 0
	s_mov_b32 s1, exec_lo
	s_delay_alu instid0(VALU_DEP_1)
	v_cmpx_eq_u32_e32 0, v0
	s_xor_b32 s1, exec_lo, s1
	s_cbranch_execz .LBB23_27
; %bb.26:
	v_mov_b32_e32 v0, 0
	v_mov_b32_e32 v2, s0
	global_atomic_max_i32 v0, v2, s[4:5]
.LBB23_27:
	s_or_b32 exec_lo, exec_lo, s1
	v_add_co_u32 v2, vcc_lo, s8, v3
	v_add_co_ci_u32_e32 v3, vcc_lo, s9, v4, vcc_lo
	s_cmp_eq_u32 s3, 0
	s_cselect_b32 s0, -1, 0
	global_load_b32 v0, v[2:3], off
	s_waitcnt vmcnt(0)
	v_cmp_eq_u32_e32 vcc_lo, -1, v0
	s_and_b32 s0, s0, vcc_lo
	s_delay_alu instid0(SALU_CYCLE_1)
	s_and_b32 exec_lo, exec_lo, s0
	s_cbranch_execz .LBB23_32
; %bb.28:
	v_add_co_u32 v0, s0, s2, v1
	s_delay_alu instid0(VALU_DEP_1)
	v_add_co_ci_u32_e64 v1, null, 0, 0, s0
	s_mov_b32 s3, exec_lo
	s_mov_b64 s[0:1], -1
.LBB23_29:                              ; =>This Inner Loop Header: Depth=1
	s_ctz_i32_b32 s2, s3
	s_delay_alu instid0(VALU_DEP_1) | instid1(SALU_CYCLE_1)
	v_readlane_b32 s5, v1, s2
	v_readlane_b32 s4, v0, s2
	s_delay_alu instid0(VALU_DEP_1) | instskip(NEXT) | instid1(VALU_DEP_1)
	v_cmp_lt_u64_e64 s8, s[0:1], s[4:5]
	s_and_b32 s8, s8, exec_lo
	s_cselect_b32 s1, s1, s5
	s_cselect_b32 s0, s0, s4
	s_lshl_b32 s2, 1, s2
	s_delay_alu instid0(SALU_CYCLE_1) | instskip(NEXT) | instid1(SALU_CYCLE_1)
	s_and_not1_b32 s3, s3, s2
	s_cmp_lg_u32 s3, 0
	s_cbranch_scc1 .LBB23_29
; %bb.30:
	v_mbcnt_lo_u32_b32 v0, exec_lo, 0
	s_mov_b32 s2, exec_lo
	s_delay_alu instid0(VALU_DEP_1)
	v_cmpx_eq_u32_e32 0, v0
	s_xor_b32 s2, exec_lo, s2
	s_cbranch_execz .LBB23_32
; %bb.31:
	v_mov_b32_e32 v0, s0
	v_dual_mov_b32 v2, 0 :: v_dual_mov_b32 v1, s1
	global_atomic_min_u64 v2, v[0:1], s[6:7]
.LBB23_32:
	s_nop 0
	s_sendmsg sendmsg(MSG_DEALLOC_VGPRS)
	s_endpgm
	.section	.rodata,"a",@progbits
	.p2align	6, 0x0
	.amdhsa_kernel _ZN9rocsparseL27csrsv_analysis_lower_kernelILj1024ELj64ELb0EilEEvT3_PKT2_PKS1_PS2_PiS7_PS1_21rocsparse_index_base_20rocsparse_diag_type_
		.amdhsa_group_segment_fixed_size 64
		.amdhsa_private_segment_fixed_size 0
		.amdhsa_kernarg_size 64
		.amdhsa_user_sgpr_count 15
		.amdhsa_user_sgpr_dispatch_ptr 0
		.amdhsa_user_sgpr_queue_ptr 0
		.amdhsa_user_sgpr_kernarg_segment_ptr 1
		.amdhsa_user_sgpr_dispatch_id 0
		.amdhsa_user_sgpr_private_segment_size 0
		.amdhsa_wavefront_size32 1
		.amdhsa_uses_dynamic_stack 0
		.amdhsa_enable_private_segment 0
		.amdhsa_system_sgpr_workgroup_id_x 1
		.amdhsa_system_sgpr_workgroup_id_y 0
		.amdhsa_system_sgpr_workgroup_id_z 0
		.amdhsa_system_sgpr_workgroup_info 0
		.amdhsa_system_vgpr_workitem_id 0
		.amdhsa_next_free_vgpr 15
		.amdhsa_next_free_sgpr 22
		.amdhsa_reserve_vcc 1
		.amdhsa_float_round_mode_32 0
		.amdhsa_float_round_mode_16_64 0
		.amdhsa_float_denorm_mode_32 3
		.amdhsa_float_denorm_mode_16_64 3
		.amdhsa_dx10_clamp 1
		.amdhsa_ieee_mode 1
		.amdhsa_fp16_overflow 0
		.amdhsa_workgroup_processor_mode 1
		.amdhsa_memory_ordered 1
		.amdhsa_forward_progress 0
		.amdhsa_shared_vgpr_count 0
		.amdhsa_exception_fp_ieee_invalid_op 0
		.amdhsa_exception_fp_denorm_src 0
		.amdhsa_exception_fp_ieee_div_zero 0
		.amdhsa_exception_fp_ieee_overflow 0
		.amdhsa_exception_fp_ieee_underflow 0
		.amdhsa_exception_fp_ieee_inexact 0
		.amdhsa_exception_int_div_zero 0
	.end_amdhsa_kernel
	.section	.text._ZN9rocsparseL27csrsv_analysis_lower_kernelILj1024ELj64ELb0EilEEvT3_PKT2_PKS1_PS2_PiS7_PS1_21rocsparse_index_base_20rocsparse_diag_type_,"axG",@progbits,_ZN9rocsparseL27csrsv_analysis_lower_kernelILj1024ELj64ELb0EilEEvT3_PKT2_PKS1_PS2_PiS7_PS1_21rocsparse_index_base_20rocsparse_diag_type_,comdat
.Lfunc_end23:
	.size	_ZN9rocsparseL27csrsv_analysis_lower_kernelILj1024ELj64ELb0EilEEvT3_PKT2_PKS1_PS2_PiS7_PS1_21rocsparse_index_base_20rocsparse_diag_type_, .Lfunc_end23-_ZN9rocsparseL27csrsv_analysis_lower_kernelILj1024ELj64ELb0EilEEvT3_PKT2_PKS1_PS2_PiS7_PS1_21rocsparse_index_base_20rocsparse_diag_type_
                                        ; -- End function
	.section	.AMDGPU.csdata,"",@progbits
; Kernel info:
; codeLenInByte = 1288
; NumSgprs: 24
; NumVgprs: 15
; ScratchSize: 0
; MemoryBound: 0
; FloatMode: 240
; IeeeMode: 1
; LDSByteSize: 64 bytes/workgroup (compile time only)
; SGPRBlocks: 2
; VGPRBlocks: 1
; NumSGPRsForWavesPerEU: 24
; NumVGPRsForWavesPerEU: 15
; Occupancy: 16
; WaveLimiterHint : 1
; COMPUTE_PGM_RSRC2:SCRATCH_EN: 0
; COMPUTE_PGM_RSRC2:USER_SGPR: 15
; COMPUTE_PGM_RSRC2:TRAP_HANDLER: 0
; COMPUTE_PGM_RSRC2:TGID_X_EN: 1
; COMPUTE_PGM_RSRC2:TGID_Y_EN: 0
; COMPUTE_PGM_RSRC2:TGID_Z_EN: 0
; COMPUTE_PGM_RSRC2:TIDIG_COMP_CNT: 0
	.text
	.p2alignl 7, 3214868480
	.fill 96, 4, 3214868480
	.type	__hip_cuid_a90a326f269ef108,@object ; @__hip_cuid_a90a326f269ef108
	.section	.bss,"aw",@nobits
	.globl	__hip_cuid_a90a326f269ef108
__hip_cuid_a90a326f269ef108:
	.byte	0                               ; 0x0
	.size	__hip_cuid_a90a326f269ef108, 1

	.ident	"AMD clang version 19.0.0git (https://github.com/RadeonOpenCompute/llvm-project roc-6.4.0 25133 c7fe45cf4b819c5991fe208aaa96edf142730f1d)"
	.section	".note.GNU-stack","",@progbits
	.addrsig
	.addrsig_sym __hip_cuid_a90a326f269ef108
	.amdgpu_metadata
---
amdhsa.kernels:
  - .args:
      - .offset:         0
        .size:           4
        .value_kind:     by_value
      - .actual_access:  read_only
        .address_space:  global
        .offset:         8
        .size:           8
        .value_kind:     global_buffer
      - .actual_access:  read_only
        .address_space:  global
        .offset:         16
        .size:           8
        .value_kind:     global_buffer
      - .address_space:  global
        .offset:         24
        .size:           8
        .value_kind:     global_buffer
      - .address_space:  global
        .offset:         32
        .size:           8
        .value_kind:     global_buffer
      - .address_space:  global
        .offset:         40
        .size:           8
        .value_kind:     global_buffer
      - .address_space:  global
        .offset:         48
        .size:           8
        .value_kind:     global_buffer
      - .offset:         56
        .size:           4
        .value_kind:     by_value
      - .offset:         60
        .size:           4
        .value_kind:     by_value
    .group_segment_fixed_size: 64
    .kernarg_segment_align: 8
    .kernarg_segment_size: 64
    .language:       OpenCL C
    .language_version:
      - 2
      - 0
    .max_flat_workgroup_size: 1024
    .name:           _ZN9rocsparseL27csrsv_analysis_upper_kernelILj1024ELj64ELb1EiiEEvT3_PKT2_PKS1_PS2_PiS7_PS1_21rocsparse_index_base_20rocsparse_diag_type_
    .private_segment_fixed_size: 0
    .sgpr_count:     25
    .sgpr_spill_count: 0
    .symbol:         _ZN9rocsparseL27csrsv_analysis_upper_kernelILj1024ELj64ELb1EiiEEvT3_PKT2_PKS1_PS2_PiS7_PS1_21rocsparse_index_base_20rocsparse_diag_type_.kd
    .uniform_work_group_size: 1
    .uses_dynamic_stack: false
    .vgpr_count:     13
    .vgpr_spill_count: 0
    .wavefront_size: 32
    .workgroup_processor_mode: 1
  - .args:
      - .offset:         0
        .size:           4
        .value_kind:     by_value
      - .actual_access:  read_only
        .address_space:  global
        .offset:         8
        .size:           8
        .value_kind:     global_buffer
      - .actual_access:  read_only
        .address_space:  global
        .offset:         16
        .size:           8
        .value_kind:     global_buffer
      - .address_space:  global
        .offset:         24
        .size:           8
        .value_kind:     global_buffer
      - .address_space:  global
        .offset:         32
        .size:           8
        .value_kind:     global_buffer
      - .address_space:  global
        .offset:         40
        .size:           8
        .value_kind:     global_buffer
      - .address_space:  global
        .offset:         48
        .size:           8
        .value_kind:     global_buffer
      - .offset:         56
        .size:           4
        .value_kind:     by_value
      - .offset:         60
        .size:           4
        .value_kind:     by_value
    .group_segment_fixed_size: 64
    .kernarg_segment_align: 8
    .kernarg_segment_size: 64
    .language:       OpenCL C
    .language_version:
      - 2
      - 0
    .max_flat_workgroup_size: 1024
    .name:           _ZN9rocsparseL27csrsv_analysis_lower_kernelILj1024ELj64ELb1EiiEEvT3_PKT2_PKS1_PS2_PiS7_PS1_21rocsparse_index_base_20rocsparse_diag_type_
    .private_segment_fixed_size: 0
    .sgpr_count:     25
    .sgpr_spill_count: 0
    .symbol:         _ZN9rocsparseL27csrsv_analysis_lower_kernelILj1024ELj64ELb1EiiEEvT3_PKT2_PKS1_PS2_PiS7_PS1_21rocsparse_index_base_20rocsparse_diag_type_.kd
    .uniform_work_group_size: 1
    .uses_dynamic_stack: false
    .vgpr_count:     13
    .vgpr_spill_count: 0
    .wavefront_size: 32
    .workgroup_processor_mode: 1
  - .args:
      - .offset:         0
        .size:           4
        .value_kind:     by_value
      - .actual_access:  read_only
        .address_space:  global
        .offset:         8
        .size:           8
        .value_kind:     global_buffer
      - .actual_access:  read_only
        .address_space:  global
        .offset:         16
        .size:           8
        .value_kind:     global_buffer
      - .address_space:  global
        .offset:         24
        .size:           8
        .value_kind:     global_buffer
      - .address_space:  global
        .offset:         32
        .size:           8
        .value_kind:     global_buffer
      - .address_space:  global
        .offset:         40
        .size:           8
        .value_kind:     global_buffer
      - .address_space:  global
        .offset:         48
        .size:           8
        .value_kind:     global_buffer
      - .offset:         56
        .size:           4
        .value_kind:     by_value
      - .offset:         60
        .size:           4
        .value_kind:     by_value
    .group_segment_fixed_size: 128
    .kernarg_segment_align: 8
    .kernarg_segment_size: 64
    .language:       OpenCL C
    .language_version:
      - 2
      - 0
    .max_flat_workgroup_size: 1024
    .name:           _ZN9rocsparseL27csrsv_analysis_upper_kernelILj1024ELj32ELb0EiiEEvT3_PKT2_PKS1_PS2_PiS7_PS1_21rocsparse_index_base_20rocsparse_diag_type_
    .private_segment_fixed_size: 0
    .sgpr_count:     23
    .sgpr_spill_count: 0
    .symbol:         _ZN9rocsparseL27csrsv_analysis_upper_kernelILj1024ELj32ELb0EiiEEvT3_PKT2_PKS1_PS2_PiS7_PS1_21rocsparse_index_base_20rocsparse_diag_type_.kd
    .uniform_work_group_size: 1
    .uses_dynamic_stack: false
    .vgpr_count:     13
    .vgpr_spill_count: 0
    .wavefront_size: 32
    .workgroup_processor_mode: 1
  - .args:
      - .offset:         0
        .size:           4
        .value_kind:     by_value
      - .actual_access:  read_only
        .address_space:  global
        .offset:         8
        .size:           8
        .value_kind:     global_buffer
      - .actual_access:  read_only
        .address_space:  global
        .offset:         16
        .size:           8
        .value_kind:     global_buffer
      - .address_space:  global
        .offset:         24
        .size:           8
        .value_kind:     global_buffer
      - .address_space:  global
        .offset:         32
        .size:           8
        .value_kind:     global_buffer
      - .address_space:  global
        .offset:         40
        .size:           8
        .value_kind:     global_buffer
      - .address_space:  global
        .offset:         48
        .size:           8
        .value_kind:     global_buffer
      - .offset:         56
        .size:           4
        .value_kind:     by_value
      - .offset:         60
        .size:           4
        .value_kind:     by_value
    .group_segment_fixed_size: 128
    .kernarg_segment_align: 8
    .kernarg_segment_size: 64
    .language:       OpenCL C
    .language_version:
      - 2
      - 0
    .max_flat_workgroup_size: 1024
    .name:           _ZN9rocsparseL27csrsv_analysis_lower_kernelILj1024ELj32ELb0EiiEEvT3_PKT2_PKS1_PS2_PiS7_PS1_21rocsparse_index_base_20rocsparse_diag_type_
    .private_segment_fixed_size: 0
    .sgpr_count:     23
    .sgpr_spill_count: 0
    .symbol:         _ZN9rocsparseL27csrsv_analysis_lower_kernelILj1024ELj32ELb0EiiEEvT3_PKT2_PKS1_PS2_PiS7_PS1_21rocsparse_index_base_20rocsparse_diag_type_.kd
    .uniform_work_group_size: 1
    .uses_dynamic_stack: false
    .vgpr_count:     13
    .vgpr_spill_count: 0
    .wavefront_size: 32
    .workgroup_processor_mode: 1
  - .args:
      - .offset:         0
        .size:           4
        .value_kind:     by_value
      - .actual_access:  read_only
        .address_space:  global
        .offset:         8
        .size:           8
        .value_kind:     global_buffer
      - .actual_access:  read_only
        .address_space:  global
        .offset:         16
        .size:           8
        .value_kind:     global_buffer
      - .address_space:  global
        .offset:         24
        .size:           8
        .value_kind:     global_buffer
      - .address_space:  global
        .offset:         32
        .size:           8
        .value_kind:     global_buffer
      - .address_space:  global
        .offset:         40
        .size:           8
        .value_kind:     global_buffer
      - .address_space:  global
        .offset:         48
        .size:           8
        .value_kind:     global_buffer
      - .offset:         56
        .size:           4
        .value_kind:     by_value
      - .offset:         60
        .size:           4
        .value_kind:     by_value
    .group_segment_fixed_size: 64
    .kernarg_segment_align: 8
    .kernarg_segment_size: 64
    .language:       OpenCL C
    .language_version:
      - 2
      - 0
    .max_flat_workgroup_size: 1024
    .name:           _ZN9rocsparseL27csrsv_analysis_upper_kernelILj1024ELj64ELb0EiiEEvT3_PKT2_PKS1_PS2_PiS7_PS1_21rocsparse_index_base_20rocsparse_diag_type_
    .private_segment_fixed_size: 0
    .sgpr_count:     23
    .sgpr_spill_count: 0
    .symbol:         _ZN9rocsparseL27csrsv_analysis_upper_kernelILj1024ELj64ELb0EiiEEvT3_PKT2_PKS1_PS2_PiS7_PS1_21rocsparse_index_base_20rocsparse_diag_type_.kd
    .uniform_work_group_size: 1
    .uses_dynamic_stack: false
    .vgpr_count:     13
    .vgpr_spill_count: 0
    .wavefront_size: 32
    .workgroup_processor_mode: 1
  - .args:
      - .offset:         0
        .size:           4
        .value_kind:     by_value
      - .actual_access:  read_only
        .address_space:  global
        .offset:         8
        .size:           8
        .value_kind:     global_buffer
      - .actual_access:  read_only
        .address_space:  global
        .offset:         16
        .size:           8
        .value_kind:     global_buffer
      - .address_space:  global
        .offset:         24
        .size:           8
        .value_kind:     global_buffer
      - .address_space:  global
        .offset:         32
        .size:           8
        .value_kind:     global_buffer
      - .address_space:  global
        .offset:         40
        .size:           8
        .value_kind:     global_buffer
      - .address_space:  global
        .offset:         48
        .size:           8
        .value_kind:     global_buffer
      - .offset:         56
        .size:           4
        .value_kind:     by_value
      - .offset:         60
        .size:           4
        .value_kind:     by_value
    .group_segment_fixed_size: 64
    .kernarg_segment_align: 8
    .kernarg_segment_size: 64
    .language:       OpenCL C
    .language_version:
      - 2
      - 0
    .max_flat_workgroup_size: 1024
    .name:           _ZN9rocsparseL27csrsv_analysis_lower_kernelILj1024ELj64ELb0EiiEEvT3_PKT2_PKS1_PS2_PiS7_PS1_21rocsparse_index_base_20rocsparse_diag_type_
    .private_segment_fixed_size: 0
    .sgpr_count:     23
    .sgpr_spill_count: 0
    .symbol:         _ZN9rocsparseL27csrsv_analysis_lower_kernelILj1024ELj64ELb0EiiEEvT3_PKT2_PKS1_PS2_PiS7_PS1_21rocsparse_index_base_20rocsparse_diag_type_.kd
    .uniform_work_group_size: 1
    .uses_dynamic_stack: false
    .vgpr_count:     13
    .vgpr_spill_count: 0
    .wavefront_size: 32
    .workgroup_processor_mode: 1
  - .args:
      - .offset:         0
        .size:           4
        .value_kind:     by_value
      - .actual_access:  read_only
        .address_space:  global
        .offset:         8
        .size:           8
        .value_kind:     global_buffer
      - .actual_access:  read_only
        .address_space:  global
        .offset:         16
        .size:           8
        .value_kind:     global_buffer
      - .address_space:  global
        .offset:         24
        .size:           8
        .value_kind:     global_buffer
      - .address_space:  global
        .offset:         32
        .size:           8
        .value_kind:     global_buffer
      - .address_space:  global
        .offset:         40
        .size:           8
        .value_kind:     global_buffer
      - .address_space:  global
        .offset:         48
        .size:           8
        .value_kind:     global_buffer
      - .offset:         56
        .size:           4
        .value_kind:     by_value
      - .offset:         60
        .size:           4
        .value_kind:     by_value
    .group_segment_fixed_size: 64
    .kernarg_segment_align: 8
    .kernarg_segment_size: 64
    .language:       OpenCL C
    .language_version:
      - 2
      - 0
    .max_flat_workgroup_size: 1024
    .name:           _ZN9rocsparseL27csrsv_analysis_upper_kernelILj1024ELj64ELb1EliEEvT3_PKT2_PKS1_PS2_PiS7_PS1_21rocsparse_index_base_20rocsparse_diag_type_
    .private_segment_fixed_size: 0
    .sgpr_count:     25
    .sgpr_spill_count: 0
    .symbol:         _ZN9rocsparseL27csrsv_analysis_upper_kernelILj1024ELj64ELb1EliEEvT3_PKT2_PKS1_PS2_PiS7_PS1_21rocsparse_index_base_20rocsparse_diag_type_.kd
    .uniform_work_group_size: 1
    .uses_dynamic_stack: false
    .vgpr_count:     17
    .vgpr_spill_count: 0
    .wavefront_size: 32
    .workgroup_processor_mode: 1
  - .args:
      - .offset:         0
        .size:           4
        .value_kind:     by_value
      - .actual_access:  read_only
        .address_space:  global
        .offset:         8
        .size:           8
        .value_kind:     global_buffer
      - .actual_access:  read_only
        .address_space:  global
        .offset:         16
        .size:           8
        .value_kind:     global_buffer
      - .address_space:  global
        .offset:         24
        .size:           8
        .value_kind:     global_buffer
      - .address_space:  global
        .offset:         32
        .size:           8
        .value_kind:     global_buffer
      - .address_space:  global
        .offset:         40
        .size:           8
        .value_kind:     global_buffer
      - .address_space:  global
        .offset:         48
        .size:           8
        .value_kind:     global_buffer
      - .offset:         56
        .size:           4
        .value_kind:     by_value
      - .offset:         60
        .size:           4
        .value_kind:     by_value
    .group_segment_fixed_size: 64
    .kernarg_segment_align: 8
    .kernarg_segment_size: 64
    .language:       OpenCL C
    .language_version:
      - 2
      - 0
    .max_flat_workgroup_size: 1024
    .name:           _ZN9rocsparseL27csrsv_analysis_lower_kernelILj1024ELj64ELb1EliEEvT3_PKT2_PKS1_PS2_PiS7_PS1_21rocsparse_index_base_20rocsparse_diag_type_
    .private_segment_fixed_size: 0
    .sgpr_count:     25
    .sgpr_spill_count: 0
    .symbol:         _ZN9rocsparseL27csrsv_analysis_lower_kernelILj1024ELj64ELb1EliEEvT3_PKT2_PKS1_PS2_PiS7_PS1_21rocsparse_index_base_20rocsparse_diag_type_.kd
    .uniform_work_group_size: 1
    .uses_dynamic_stack: false
    .vgpr_count:     17
    .vgpr_spill_count: 0
    .wavefront_size: 32
    .workgroup_processor_mode: 1
  - .args:
      - .offset:         0
        .size:           4
        .value_kind:     by_value
      - .actual_access:  read_only
        .address_space:  global
        .offset:         8
        .size:           8
        .value_kind:     global_buffer
      - .actual_access:  read_only
        .address_space:  global
        .offset:         16
        .size:           8
        .value_kind:     global_buffer
      - .address_space:  global
        .offset:         24
        .size:           8
        .value_kind:     global_buffer
      - .address_space:  global
        .offset:         32
        .size:           8
        .value_kind:     global_buffer
      - .address_space:  global
        .offset:         40
        .size:           8
        .value_kind:     global_buffer
      - .address_space:  global
        .offset:         48
        .size:           8
        .value_kind:     global_buffer
      - .offset:         56
        .size:           4
        .value_kind:     by_value
      - .offset:         60
        .size:           4
        .value_kind:     by_value
    .group_segment_fixed_size: 128
    .kernarg_segment_align: 8
    .kernarg_segment_size: 64
    .language:       OpenCL C
    .language_version:
      - 2
      - 0
    .max_flat_workgroup_size: 1024
    .name:           _ZN9rocsparseL27csrsv_analysis_upper_kernelILj1024ELj32ELb0EliEEvT3_PKT2_PKS1_PS2_PiS7_PS1_21rocsparse_index_base_20rocsparse_diag_type_
    .private_segment_fixed_size: 0
    .sgpr_count:     23
    .sgpr_spill_count: 0
    .symbol:         _ZN9rocsparseL27csrsv_analysis_upper_kernelILj1024ELj32ELb0EliEEvT3_PKT2_PKS1_PS2_PiS7_PS1_21rocsparse_index_base_20rocsparse_diag_type_.kd
    .uniform_work_group_size: 1
    .uses_dynamic_stack: false
    .vgpr_count:     17
    .vgpr_spill_count: 0
    .wavefront_size: 32
    .workgroup_processor_mode: 1
  - .args:
      - .offset:         0
        .size:           4
        .value_kind:     by_value
      - .actual_access:  read_only
        .address_space:  global
        .offset:         8
        .size:           8
        .value_kind:     global_buffer
      - .actual_access:  read_only
        .address_space:  global
        .offset:         16
        .size:           8
        .value_kind:     global_buffer
      - .address_space:  global
        .offset:         24
        .size:           8
        .value_kind:     global_buffer
      - .address_space:  global
        .offset:         32
        .size:           8
        .value_kind:     global_buffer
      - .address_space:  global
        .offset:         40
        .size:           8
        .value_kind:     global_buffer
      - .address_space:  global
        .offset:         48
        .size:           8
        .value_kind:     global_buffer
      - .offset:         56
        .size:           4
        .value_kind:     by_value
      - .offset:         60
        .size:           4
        .value_kind:     by_value
    .group_segment_fixed_size: 128
    .kernarg_segment_align: 8
    .kernarg_segment_size: 64
    .language:       OpenCL C
    .language_version:
      - 2
      - 0
    .max_flat_workgroup_size: 1024
    .name:           _ZN9rocsparseL27csrsv_analysis_lower_kernelILj1024ELj32ELb0EliEEvT3_PKT2_PKS1_PS2_PiS7_PS1_21rocsparse_index_base_20rocsparse_diag_type_
    .private_segment_fixed_size: 0
    .sgpr_count:     23
    .sgpr_spill_count: 0
    .symbol:         _ZN9rocsparseL27csrsv_analysis_lower_kernelILj1024ELj32ELb0EliEEvT3_PKT2_PKS1_PS2_PiS7_PS1_21rocsparse_index_base_20rocsparse_diag_type_.kd
    .uniform_work_group_size: 1
    .uses_dynamic_stack: false
    .vgpr_count:     17
    .vgpr_spill_count: 0
    .wavefront_size: 32
    .workgroup_processor_mode: 1
  - .args:
      - .offset:         0
        .size:           4
        .value_kind:     by_value
      - .actual_access:  read_only
        .address_space:  global
        .offset:         8
        .size:           8
        .value_kind:     global_buffer
      - .actual_access:  read_only
        .address_space:  global
        .offset:         16
        .size:           8
        .value_kind:     global_buffer
      - .address_space:  global
        .offset:         24
        .size:           8
        .value_kind:     global_buffer
      - .address_space:  global
        .offset:         32
        .size:           8
        .value_kind:     global_buffer
      - .address_space:  global
        .offset:         40
        .size:           8
        .value_kind:     global_buffer
      - .address_space:  global
        .offset:         48
        .size:           8
        .value_kind:     global_buffer
      - .offset:         56
        .size:           4
        .value_kind:     by_value
      - .offset:         60
        .size:           4
        .value_kind:     by_value
    .group_segment_fixed_size: 64
    .kernarg_segment_align: 8
    .kernarg_segment_size: 64
    .language:       OpenCL C
    .language_version:
      - 2
      - 0
    .max_flat_workgroup_size: 1024
    .name:           _ZN9rocsparseL27csrsv_analysis_upper_kernelILj1024ELj64ELb0EliEEvT3_PKT2_PKS1_PS2_PiS7_PS1_21rocsparse_index_base_20rocsparse_diag_type_
    .private_segment_fixed_size: 0
    .sgpr_count:     23
    .sgpr_spill_count: 0
    .symbol:         _ZN9rocsparseL27csrsv_analysis_upper_kernelILj1024ELj64ELb0EliEEvT3_PKT2_PKS1_PS2_PiS7_PS1_21rocsparse_index_base_20rocsparse_diag_type_.kd
    .uniform_work_group_size: 1
    .uses_dynamic_stack: false
    .vgpr_count:     17
    .vgpr_spill_count: 0
    .wavefront_size: 32
    .workgroup_processor_mode: 1
  - .args:
      - .offset:         0
        .size:           4
        .value_kind:     by_value
      - .actual_access:  read_only
        .address_space:  global
        .offset:         8
        .size:           8
        .value_kind:     global_buffer
      - .actual_access:  read_only
        .address_space:  global
        .offset:         16
        .size:           8
        .value_kind:     global_buffer
      - .address_space:  global
        .offset:         24
        .size:           8
        .value_kind:     global_buffer
      - .address_space:  global
        .offset:         32
        .size:           8
        .value_kind:     global_buffer
      - .address_space:  global
        .offset:         40
        .size:           8
        .value_kind:     global_buffer
      - .address_space:  global
        .offset:         48
        .size:           8
        .value_kind:     global_buffer
      - .offset:         56
        .size:           4
        .value_kind:     by_value
      - .offset:         60
        .size:           4
        .value_kind:     by_value
    .group_segment_fixed_size: 64
    .kernarg_segment_align: 8
    .kernarg_segment_size: 64
    .language:       OpenCL C
    .language_version:
      - 2
      - 0
    .max_flat_workgroup_size: 1024
    .name:           _ZN9rocsparseL27csrsv_analysis_lower_kernelILj1024ELj64ELb0EliEEvT3_PKT2_PKS1_PS2_PiS7_PS1_21rocsparse_index_base_20rocsparse_diag_type_
    .private_segment_fixed_size: 0
    .sgpr_count:     23
    .sgpr_spill_count: 0
    .symbol:         _ZN9rocsparseL27csrsv_analysis_lower_kernelILj1024ELj64ELb0EliEEvT3_PKT2_PKS1_PS2_PiS7_PS1_21rocsparse_index_base_20rocsparse_diag_type_.kd
    .uniform_work_group_size: 1
    .uses_dynamic_stack: false
    .vgpr_count:     17
    .vgpr_spill_count: 0
    .wavefront_size: 32
    .workgroup_processor_mode: 1
  - .args:
      - .offset:         0
        .size:           8
        .value_kind:     by_value
      - .actual_access:  read_only
        .address_space:  global
        .offset:         8
        .size:           8
        .value_kind:     global_buffer
      - .actual_access:  read_only
        .address_space:  global
        .offset:         16
        .size:           8
        .value_kind:     global_buffer
      - .address_space:  global
        .offset:         24
        .size:           8
        .value_kind:     global_buffer
      - .address_space:  global
        .offset:         32
        .size:           8
        .value_kind:     global_buffer
      - .address_space:  global
        .offset:         40
        .size:           8
        .value_kind:     global_buffer
      - .address_space:  global
        .offset:         48
        .size:           8
        .value_kind:     global_buffer
      - .offset:         56
        .size:           4
        .value_kind:     by_value
      - .offset:         60
        .size:           4
        .value_kind:     by_value
    .group_segment_fixed_size: 64
    .kernarg_segment_align: 8
    .kernarg_segment_size: 64
    .language:       OpenCL C
    .language_version:
      - 2
      - 0
    .max_flat_workgroup_size: 1024
    .name:           _ZN9rocsparseL27csrsv_analysis_upper_kernelILj1024ELj64ELb1EllEEvT3_PKT2_PKS1_PS2_PiS7_PS1_21rocsparse_index_base_20rocsparse_diag_type_
    .private_segment_fixed_size: 0
    .sgpr_count:     26
    .sgpr_spill_count: 0
    .symbol:         _ZN9rocsparseL27csrsv_analysis_upper_kernelILj1024ELj64ELb1EllEEvT3_PKT2_PKS1_PS2_PiS7_PS1_21rocsparse_index_base_20rocsparse_diag_type_.kd
    .uniform_work_group_size: 1
    .uses_dynamic_stack: false
    .vgpr_count:     18
    .vgpr_spill_count: 0
    .wavefront_size: 32
    .workgroup_processor_mode: 1
  - .args:
      - .offset:         0
        .size:           8
        .value_kind:     by_value
      - .actual_access:  read_only
        .address_space:  global
        .offset:         8
        .size:           8
        .value_kind:     global_buffer
      - .actual_access:  read_only
        .address_space:  global
        .offset:         16
        .size:           8
        .value_kind:     global_buffer
      - .address_space:  global
        .offset:         24
        .size:           8
        .value_kind:     global_buffer
      - .address_space:  global
        .offset:         32
        .size:           8
        .value_kind:     global_buffer
      - .address_space:  global
        .offset:         40
        .size:           8
        .value_kind:     global_buffer
      - .address_space:  global
        .offset:         48
        .size:           8
        .value_kind:     global_buffer
      - .offset:         56
        .size:           4
        .value_kind:     by_value
      - .offset:         60
        .size:           4
        .value_kind:     by_value
    .group_segment_fixed_size: 64
    .kernarg_segment_align: 8
    .kernarg_segment_size: 64
    .language:       OpenCL C
    .language_version:
      - 2
      - 0
    .max_flat_workgroup_size: 1024
    .name:           _ZN9rocsparseL27csrsv_analysis_lower_kernelILj1024ELj64ELb1EllEEvT3_PKT2_PKS1_PS2_PiS7_PS1_21rocsparse_index_base_20rocsparse_diag_type_
    .private_segment_fixed_size: 0
    .sgpr_count:     26
    .sgpr_spill_count: 0
    .symbol:         _ZN9rocsparseL27csrsv_analysis_lower_kernelILj1024ELj64ELb1EllEEvT3_PKT2_PKS1_PS2_PiS7_PS1_21rocsparse_index_base_20rocsparse_diag_type_.kd
    .uniform_work_group_size: 1
    .uses_dynamic_stack: false
    .vgpr_count:     18
    .vgpr_spill_count: 0
    .wavefront_size: 32
    .workgroup_processor_mode: 1
  - .args:
      - .offset:         0
        .size:           8
        .value_kind:     by_value
      - .actual_access:  read_only
        .address_space:  global
        .offset:         8
        .size:           8
        .value_kind:     global_buffer
      - .actual_access:  read_only
        .address_space:  global
        .offset:         16
        .size:           8
        .value_kind:     global_buffer
      - .address_space:  global
        .offset:         24
        .size:           8
        .value_kind:     global_buffer
      - .address_space:  global
        .offset:         32
        .size:           8
        .value_kind:     global_buffer
      - .address_space:  global
        .offset:         40
        .size:           8
        .value_kind:     global_buffer
      - .address_space:  global
        .offset:         48
        .size:           8
        .value_kind:     global_buffer
      - .offset:         56
        .size:           4
        .value_kind:     by_value
      - .offset:         60
        .size:           4
        .value_kind:     by_value
    .group_segment_fixed_size: 128
    .kernarg_segment_align: 8
    .kernarg_segment_size: 64
    .language:       OpenCL C
    .language_version:
      - 2
      - 0
    .max_flat_workgroup_size: 1024
    .name:           _ZN9rocsparseL27csrsv_analysis_upper_kernelILj1024ELj32ELb0EllEEvT3_PKT2_PKS1_PS2_PiS7_PS1_21rocsparse_index_base_20rocsparse_diag_type_
    .private_segment_fixed_size: 0
    .sgpr_count:     24
    .sgpr_spill_count: 0
    .symbol:         _ZN9rocsparseL27csrsv_analysis_upper_kernelILj1024ELj32ELb0EllEEvT3_PKT2_PKS1_PS2_PiS7_PS1_21rocsparse_index_base_20rocsparse_diag_type_.kd
    .uniform_work_group_size: 1
    .uses_dynamic_stack: false
    .vgpr_count:     18
    .vgpr_spill_count: 0
    .wavefront_size: 32
    .workgroup_processor_mode: 1
  - .args:
      - .offset:         0
        .size:           8
        .value_kind:     by_value
      - .actual_access:  read_only
        .address_space:  global
        .offset:         8
        .size:           8
        .value_kind:     global_buffer
      - .actual_access:  read_only
        .address_space:  global
        .offset:         16
        .size:           8
        .value_kind:     global_buffer
      - .address_space:  global
        .offset:         24
        .size:           8
        .value_kind:     global_buffer
      - .address_space:  global
        .offset:         32
        .size:           8
        .value_kind:     global_buffer
      - .address_space:  global
        .offset:         40
        .size:           8
        .value_kind:     global_buffer
      - .address_space:  global
        .offset:         48
        .size:           8
        .value_kind:     global_buffer
      - .offset:         56
        .size:           4
        .value_kind:     by_value
      - .offset:         60
        .size:           4
        .value_kind:     by_value
    .group_segment_fixed_size: 128
    .kernarg_segment_align: 8
    .kernarg_segment_size: 64
    .language:       OpenCL C
    .language_version:
      - 2
      - 0
    .max_flat_workgroup_size: 1024
    .name:           _ZN9rocsparseL27csrsv_analysis_lower_kernelILj1024ELj32ELb0EllEEvT3_PKT2_PKS1_PS2_PiS7_PS1_21rocsparse_index_base_20rocsparse_diag_type_
    .private_segment_fixed_size: 0
    .sgpr_count:     24
    .sgpr_spill_count: 0
    .symbol:         _ZN9rocsparseL27csrsv_analysis_lower_kernelILj1024ELj32ELb0EllEEvT3_PKT2_PKS1_PS2_PiS7_PS1_21rocsparse_index_base_20rocsparse_diag_type_.kd
    .uniform_work_group_size: 1
    .uses_dynamic_stack: false
    .vgpr_count:     18
    .vgpr_spill_count: 0
    .wavefront_size: 32
    .workgroup_processor_mode: 1
  - .args:
      - .offset:         0
        .size:           8
        .value_kind:     by_value
      - .actual_access:  read_only
        .address_space:  global
        .offset:         8
        .size:           8
        .value_kind:     global_buffer
      - .actual_access:  read_only
        .address_space:  global
        .offset:         16
        .size:           8
        .value_kind:     global_buffer
      - .address_space:  global
        .offset:         24
        .size:           8
        .value_kind:     global_buffer
      - .address_space:  global
        .offset:         32
        .size:           8
        .value_kind:     global_buffer
      - .address_space:  global
        .offset:         40
        .size:           8
        .value_kind:     global_buffer
      - .address_space:  global
        .offset:         48
        .size:           8
        .value_kind:     global_buffer
      - .offset:         56
        .size:           4
        .value_kind:     by_value
      - .offset:         60
        .size:           4
        .value_kind:     by_value
    .group_segment_fixed_size: 64
    .kernarg_segment_align: 8
    .kernarg_segment_size: 64
    .language:       OpenCL C
    .language_version:
      - 2
      - 0
    .max_flat_workgroup_size: 1024
    .name:           _ZN9rocsparseL27csrsv_analysis_upper_kernelILj1024ELj64ELb0EllEEvT3_PKT2_PKS1_PS2_PiS7_PS1_21rocsparse_index_base_20rocsparse_diag_type_
    .private_segment_fixed_size: 0
    .sgpr_count:     24
    .sgpr_spill_count: 0
    .symbol:         _ZN9rocsparseL27csrsv_analysis_upper_kernelILj1024ELj64ELb0EllEEvT3_PKT2_PKS1_PS2_PiS7_PS1_21rocsparse_index_base_20rocsparse_diag_type_.kd
    .uniform_work_group_size: 1
    .uses_dynamic_stack: false
    .vgpr_count:     18
    .vgpr_spill_count: 0
    .wavefront_size: 32
    .workgroup_processor_mode: 1
  - .args:
      - .offset:         0
        .size:           8
        .value_kind:     by_value
      - .actual_access:  read_only
        .address_space:  global
        .offset:         8
        .size:           8
        .value_kind:     global_buffer
      - .actual_access:  read_only
        .address_space:  global
        .offset:         16
        .size:           8
        .value_kind:     global_buffer
      - .address_space:  global
        .offset:         24
        .size:           8
        .value_kind:     global_buffer
      - .address_space:  global
        .offset:         32
        .size:           8
        .value_kind:     global_buffer
      - .address_space:  global
        .offset:         40
        .size:           8
        .value_kind:     global_buffer
      - .address_space:  global
        .offset:         48
        .size:           8
        .value_kind:     global_buffer
      - .offset:         56
        .size:           4
        .value_kind:     by_value
      - .offset:         60
        .size:           4
        .value_kind:     by_value
    .group_segment_fixed_size: 64
    .kernarg_segment_align: 8
    .kernarg_segment_size: 64
    .language:       OpenCL C
    .language_version:
      - 2
      - 0
    .max_flat_workgroup_size: 1024
    .name:           _ZN9rocsparseL27csrsv_analysis_lower_kernelILj1024ELj64ELb0EllEEvT3_PKT2_PKS1_PS2_PiS7_PS1_21rocsparse_index_base_20rocsparse_diag_type_
    .private_segment_fixed_size: 0
    .sgpr_count:     24
    .sgpr_spill_count: 0
    .symbol:         _ZN9rocsparseL27csrsv_analysis_lower_kernelILj1024ELj64ELb0EllEEvT3_PKT2_PKS1_PS2_PiS7_PS1_21rocsparse_index_base_20rocsparse_diag_type_.kd
    .uniform_work_group_size: 1
    .uses_dynamic_stack: false
    .vgpr_count:     18
    .vgpr_spill_count: 0
    .wavefront_size: 32
    .workgroup_processor_mode: 1
  - .args:
      - .offset:         0
        .size:           8
        .value_kind:     by_value
      - .actual_access:  read_only
        .address_space:  global
        .offset:         8
        .size:           8
        .value_kind:     global_buffer
      - .actual_access:  read_only
        .address_space:  global
        .offset:         16
        .size:           8
        .value_kind:     global_buffer
      - .address_space:  global
        .offset:         24
        .size:           8
        .value_kind:     global_buffer
      - .address_space:  global
        .offset:         32
        .size:           8
        .value_kind:     global_buffer
      - .address_space:  global
        .offset:         40
        .size:           8
        .value_kind:     global_buffer
      - .address_space:  global
        .offset:         48
        .size:           8
        .value_kind:     global_buffer
      - .offset:         56
        .size:           4
        .value_kind:     by_value
      - .offset:         60
        .size:           4
        .value_kind:     by_value
    .group_segment_fixed_size: 64
    .kernarg_segment_align: 8
    .kernarg_segment_size: 64
    .language:       OpenCL C
    .language_version:
      - 2
      - 0
    .max_flat_workgroup_size: 1024
    .name:           _ZN9rocsparseL27csrsv_analysis_upper_kernelILj1024ELj64ELb1EilEEvT3_PKT2_PKS1_PS2_PiS7_PS1_21rocsparse_index_base_20rocsparse_diag_type_
    .private_segment_fixed_size: 0
    .sgpr_count:     26
    .sgpr_spill_count: 0
    .symbol:         _ZN9rocsparseL27csrsv_analysis_upper_kernelILj1024ELj64ELb1EilEEvT3_PKT2_PKS1_PS2_PiS7_PS1_21rocsparse_index_base_20rocsparse_diag_type_.kd
    .uniform_work_group_size: 1
    .uses_dynamic_stack: false
    .vgpr_count:     15
    .vgpr_spill_count: 0
    .wavefront_size: 32
    .workgroup_processor_mode: 1
  - .args:
      - .offset:         0
        .size:           8
        .value_kind:     by_value
      - .actual_access:  read_only
        .address_space:  global
        .offset:         8
        .size:           8
        .value_kind:     global_buffer
      - .actual_access:  read_only
        .address_space:  global
        .offset:         16
        .size:           8
        .value_kind:     global_buffer
      - .address_space:  global
        .offset:         24
        .size:           8
        .value_kind:     global_buffer
      - .address_space:  global
        .offset:         32
        .size:           8
        .value_kind:     global_buffer
      - .address_space:  global
        .offset:         40
        .size:           8
        .value_kind:     global_buffer
      - .address_space:  global
        .offset:         48
        .size:           8
        .value_kind:     global_buffer
      - .offset:         56
        .size:           4
        .value_kind:     by_value
      - .offset:         60
        .size:           4
        .value_kind:     by_value
    .group_segment_fixed_size: 64
    .kernarg_segment_align: 8
    .kernarg_segment_size: 64
    .language:       OpenCL C
    .language_version:
      - 2
      - 0
    .max_flat_workgroup_size: 1024
    .name:           _ZN9rocsparseL27csrsv_analysis_lower_kernelILj1024ELj64ELb1EilEEvT3_PKT2_PKS1_PS2_PiS7_PS1_21rocsparse_index_base_20rocsparse_diag_type_
    .private_segment_fixed_size: 0
    .sgpr_count:     26
    .sgpr_spill_count: 0
    .symbol:         _ZN9rocsparseL27csrsv_analysis_lower_kernelILj1024ELj64ELb1EilEEvT3_PKT2_PKS1_PS2_PiS7_PS1_21rocsparse_index_base_20rocsparse_diag_type_.kd
    .uniform_work_group_size: 1
    .uses_dynamic_stack: false
    .vgpr_count:     15
    .vgpr_spill_count: 0
    .wavefront_size: 32
    .workgroup_processor_mode: 1
  - .args:
      - .offset:         0
        .size:           8
        .value_kind:     by_value
      - .actual_access:  read_only
        .address_space:  global
        .offset:         8
        .size:           8
        .value_kind:     global_buffer
      - .actual_access:  read_only
        .address_space:  global
        .offset:         16
        .size:           8
        .value_kind:     global_buffer
      - .address_space:  global
        .offset:         24
        .size:           8
        .value_kind:     global_buffer
      - .address_space:  global
        .offset:         32
        .size:           8
        .value_kind:     global_buffer
      - .address_space:  global
        .offset:         40
        .size:           8
        .value_kind:     global_buffer
      - .address_space:  global
        .offset:         48
        .size:           8
        .value_kind:     global_buffer
      - .offset:         56
        .size:           4
        .value_kind:     by_value
      - .offset:         60
        .size:           4
        .value_kind:     by_value
    .group_segment_fixed_size: 128
    .kernarg_segment_align: 8
    .kernarg_segment_size: 64
    .language:       OpenCL C
    .language_version:
      - 2
      - 0
    .max_flat_workgroup_size: 1024
    .name:           _ZN9rocsparseL27csrsv_analysis_upper_kernelILj1024ELj32ELb0EilEEvT3_PKT2_PKS1_PS2_PiS7_PS1_21rocsparse_index_base_20rocsparse_diag_type_
    .private_segment_fixed_size: 0
    .sgpr_count:     24
    .sgpr_spill_count: 0
    .symbol:         _ZN9rocsparseL27csrsv_analysis_upper_kernelILj1024ELj32ELb0EilEEvT3_PKT2_PKS1_PS2_PiS7_PS1_21rocsparse_index_base_20rocsparse_diag_type_.kd
    .uniform_work_group_size: 1
    .uses_dynamic_stack: false
    .vgpr_count:     15
    .vgpr_spill_count: 0
    .wavefront_size: 32
    .workgroup_processor_mode: 1
  - .args:
      - .offset:         0
        .size:           8
        .value_kind:     by_value
      - .actual_access:  read_only
        .address_space:  global
        .offset:         8
        .size:           8
        .value_kind:     global_buffer
      - .actual_access:  read_only
        .address_space:  global
        .offset:         16
        .size:           8
        .value_kind:     global_buffer
      - .address_space:  global
        .offset:         24
        .size:           8
        .value_kind:     global_buffer
      - .address_space:  global
        .offset:         32
        .size:           8
        .value_kind:     global_buffer
      - .address_space:  global
        .offset:         40
        .size:           8
        .value_kind:     global_buffer
      - .address_space:  global
        .offset:         48
        .size:           8
        .value_kind:     global_buffer
      - .offset:         56
        .size:           4
        .value_kind:     by_value
      - .offset:         60
        .size:           4
        .value_kind:     by_value
    .group_segment_fixed_size: 128
    .kernarg_segment_align: 8
    .kernarg_segment_size: 64
    .language:       OpenCL C
    .language_version:
      - 2
      - 0
    .max_flat_workgroup_size: 1024
    .name:           _ZN9rocsparseL27csrsv_analysis_lower_kernelILj1024ELj32ELb0EilEEvT3_PKT2_PKS1_PS2_PiS7_PS1_21rocsparse_index_base_20rocsparse_diag_type_
    .private_segment_fixed_size: 0
    .sgpr_count:     24
    .sgpr_spill_count: 0
    .symbol:         _ZN9rocsparseL27csrsv_analysis_lower_kernelILj1024ELj32ELb0EilEEvT3_PKT2_PKS1_PS2_PiS7_PS1_21rocsparse_index_base_20rocsparse_diag_type_.kd
    .uniform_work_group_size: 1
    .uses_dynamic_stack: false
    .vgpr_count:     15
    .vgpr_spill_count: 0
    .wavefront_size: 32
    .workgroup_processor_mode: 1
  - .args:
      - .offset:         0
        .size:           8
        .value_kind:     by_value
      - .actual_access:  read_only
        .address_space:  global
        .offset:         8
        .size:           8
        .value_kind:     global_buffer
      - .actual_access:  read_only
        .address_space:  global
        .offset:         16
        .size:           8
        .value_kind:     global_buffer
      - .address_space:  global
        .offset:         24
        .size:           8
        .value_kind:     global_buffer
      - .address_space:  global
        .offset:         32
        .size:           8
        .value_kind:     global_buffer
      - .address_space:  global
        .offset:         40
        .size:           8
        .value_kind:     global_buffer
      - .address_space:  global
        .offset:         48
        .size:           8
        .value_kind:     global_buffer
      - .offset:         56
        .size:           4
        .value_kind:     by_value
      - .offset:         60
        .size:           4
        .value_kind:     by_value
    .group_segment_fixed_size: 64
    .kernarg_segment_align: 8
    .kernarg_segment_size: 64
    .language:       OpenCL C
    .language_version:
      - 2
      - 0
    .max_flat_workgroup_size: 1024
    .name:           _ZN9rocsparseL27csrsv_analysis_upper_kernelILj1024ELj64ELb0EilEEvT3_PKT2_PKS1_PS2_PiS7_PS1_21rocsparse_index_base_20rocsparse_diag_type_
    .private_segment_fixed_size: 0
    .sgpr_count:     24
    .sgpr_spill_count: 0
    .symbol:         _ZN9rocsparseL27csrsv_analysis_upper_kernelILj1024ELj64ELb0EilEEvT3_PKT2_PKS1_PS2_PiS7_PS1_21rocsparse_index_base_20rocsparse_diag_type_.kd
    .uniform_work_group_size: 1
    .uses_dynamic_stack: false
    .vgpr_count:     15
    .vgpr_spill_count: 0
    .wavefront_size: 32
    .workgroup_processor_mode: 1
  - .args:
      - .offset:         0
        .size:           8
        .value_kind:     by_value
      - .actual_access:  read_only
        .address_space:  global
        .offset:         8
        .size:           8
        .value_kind:     global_buffer
      - .actual_access:  read_only
        .address_space:  global
        .offset:         16
        .size:           8
        .value_kind:     global_buffer
      - .address_space:  global
        .offset:         24
        .size:           8
        .value_kind:     global_buffer
      - .address_space:  global
        .offset:         32
        .size:           8
        .value_kind:     global_buffer
      - .address_space:  global
        .offset:         40
        .size:           8
        .value_kind:     global_buffer
      - .address_space:  global
        .offset:         48
        .size:           8
        .value_kind:     global_buffer
      - .offset:         56
        .size:           4
        .value_kind:     by_value
      - .offset:         60
        .size:           4
        .value_kind:     by_value
    .group_segment_fixed_size: 64
    .kernarg_segment_align: 8
    .kernarg_segment_size: 64
    .language:       OpenCL C
    .language_version:
      - 2
      - 0
    .max_flat_workgroup_size: 1024
    .name:           _ZN9rocsparseL27csrsv_analysis_lower_kernelILj1024ELj64ELb0EilEEvT3_PKT2_PKS1_PS2_PiS7_PS1_21rocsparse_index_base_20rocsparse_diag_type_
    .private_segment_fixed_size: 0
    .sgpr_count:     24
    .sgpr_spill_count: 0
    .symbol:         _ZN9rocsparseL27csrsv_analysis_lower_kernelILj1024ELj64ELb0EilEEvT3_PKT2_PKS1_PS2_PiS7_PS1_21rocsparse_index_base_20rocsparse_diag_type_.kd
    .uniform_work_group_size: 1
    .uses_dynamic_stack: false
    .vgpr_count:     15
    .vgpr_spill_count: 0
    .wavefront_size: 32
    .workgroup_processor_mode: 1
amdhsa.target:   amdgcn-amd-amdhsa--gfx1100
amdhsa.version:
  - 1
  - 2
...

	.end_amdgpu_metadata
